;; amdgpu-corpus repo=ROCm/rocFFT kind=compiled arch=gfx1030 opt=O3
	.text
	.amdgcn_target "amdgcn-amd-amdhsa--gfx1030"
	.amdhsa_code_object_version 6
	.protected	fft_rtc_back_len3750_factors_3_5_5_10_5_wgs_125_tpt_125_halfLds_dp_ip_CI_unitstride_sbrr_dirReg ; -- Begin function fft_rtc_back_len3750_factors_3_5_5_10_5_wgs_125_tpt_125_halfLds_dp_ip_CI_unitstride_sbrr_dirReg
	.globl	fft_rtc_back_len3750_factors_3_5_5_10_5_wgs_125_tpt_125_halfLds_dp_ip_CI_unitstride_sbrr_dirReg
	.p2align	8
	.type	fft_rtc_back_len3750_factors_3_5_5_10_5_wgs_125_tpt_125_halfLds_dp_ip_CI_unitstride_sbrr_dirReg,@function
fft_rtc_back_len3750_factors_3_5_5_10_5_wgs_125_tpt_125_halfLds_dp_ip_CI_unitstride_sbrr_dirReg: ; @fft_rtc_back_len3750_factors_3_5_5_10_5_wgs_125_tpt_125_halfLds_dp_ip_CI_unitstride_sbrr_dirReg
; %bb.0:
	s_mov_b64 s[26:27], s[2:3]
	s_mov_b64 s[24:25], s[0:1]
	s_clause 0x2
	s_load_dwordx4 s[8:11], s[4:5], 0x0
	s_load_dwordx2 s[2:3], s[4:5], 0x50
	s_load_dwordx2 s[12:13], s[4:5], 0x18
	v_mul_u32_u24_e32 v1, 0x20d, v0
	v_mov_b32_e32 v3, 0
	s_add_u32 s24, s24, s7
	s_addc_u32 s25, s25, 0
	v_add_nc_u32_sdwa v5, s6, v1 dst_sel:DWORD dst_unused:UNUSED_PAD src0_sel:DWORD src1_sel:WORD_1
	v_mov_b32_e32 v1, 0
	v_mov_b32_e32 v6, v3
	;; [unrolled: 1-line block ×3, first 2 shown]
	s_waitcnt lgkmcnt(0)
	v_cmp_lt_u64_e64 s0, s[10:11], 2
	s_and_b32 vcc_lo, exec_lo, s0
	s_cbranch_vccnz .LBB0_8
; %bb.1:
	s_load_dwordx2 s[0:1], s[4:5], 0x10
	v_mov_b32_e32 v1, 0
	s_add_u32 s6, s12, 8
	v_mov_b32_e32 v2, 0
	s_addc_u32 s7, s13, 0
	s_mov_b64 s[16:17], 1
	s_waitcnt lgkmcnt(0)
	s_add_u32 s14, s0, 8
	s_addc_u32 s15, s1, 0
.LBB0_2:                                ; =>This Inner Loop Header: Depth=1
	s_load_dwordx2 s[18:19], s[14:15], 0x0
                                        ; implicit-def: $vgpr7_vgpr8
	s_mov_b32 s0, exec_lo
	s_waitcnt lgkmcnt(0)
	v_or_b32_e32 v4, s19, v6
	v_cmpx_ne_u64_e32 0, v[3:4]
	s_xor_b32 s1, exec_lo, s0
	s_cbranch_execz .LBB0_4
; %bb.3:                                ;   in Loop: Header=BB0_2 Depth=1
	v_cvt_f32_u32_e32 v4, s18
	v_cvt_f32_u32_e32 v7, s19
	s_sub_u32 s0, 0, s18
	s_subb_u32 s20, 0, s19
	v_fmac_f32_e32 v4, 0x4f800000, v7
	v_rcp_f32_e32 v4, v4
	v_mul_f32_e32 v4, 0x5f7ffffc, v4
	v_mul_f32_e32 v7, 0x2f800000, v4
	v_trunc_f32_e32 v7, v7
	v_fmac_f32_e32 v4, 0xcf800000, v7
	v_cvt_u32_f32_e32 v7, v7
	v_cvt_u32_f32_e32 v4, v4
	v_mul_lo_u32 v8, s0, v7
	v_mul_hi_u32 v9, s0, v4
	v_mul_lo_u32 v10, s20, v4
	v_add_nc_u32_e32 v8, v9, v8
	v_mul_lo_u32 v9, s0, v4
	v_add_nc_u32_e32 v8, v8, v10
	v_mul_hi_u32 v10, v4, v9
	v_mul_lo_u32 v11, v4, v8
	v_mul_hi_u32 v12, v4, v8
	v_mul_hi_u32 v13, v7, v9
	v_mul_lo_u32 v9, v7, v9
	v_mul_hi_u32 v14, v7, v8
	v_mul_lo_u32 v8, v7, v8
	v_add_co_u32 v10, vcc_lo, v10, v11
	v_add_co_ci_u32_e32 v11, vcc_lo, 0, v12, vcc_lo
	v_add_co_u32 v9, vcc_lo, v10, v9
	v_add_co_ci_u32_e32 v9, vcc_lo, v11, v13, vcc_lo
	v_add_co_ci_u32_e32 v10, vcc_lo, 0, v14, vcc_lo
	v_add_co_u32 v8, vcc_lo, v9, v8
	v_add_co_ci_u32_e32 v9, vcc_lo, 0, v10, vcc_lo
	v_add_co_u32 v4, vcc_lo, v4, v8
	v_add_co_ci_u32_e32 v7, vcc_lo, v7, v9, vcc_lo
	v_mul_hi_u32 v8, s0, v4
	v_mul_lo_u32 v10, s20, v4
	v_mul_lo_u32 v9, s0, v7
	v_add_nc_u32_e32 v8, v8, v9
	v_mul_lo_u32 v9, s0, v4
	v_add_nc_u32_e32 v8, v8, v10
	v_mul_hi_u32 v10, v4, v9
	v_mul_lo_u32 v11, v4, v8
	v_mul_hi_u32 v12, v4, v8
	v_mul_hi_u32 v13, v7, v9
	v_mul_lo_u32 v9, v7, v9
	v_mul_hi_u32 v14, v7, v8
	v_mul_lo_u32 v8, v7, v8
	v_add_co_u32 v10, vcc_lo, v10, v11
	v_add_co_ci_u32_e32 v11, vcc_lo, 0, v12, vcc_lo
	v_add_co_u32 v9, vcc_lo, v10, v9
	v_add_co_ci_u32_e32 v9, vcc_lo, v11, v13, vcc_lo
	v_add_co_ci_u32_e32 v10, vcc_lo, 0, v14, vcc_lo
	v_add_co_u32 v8, vcc_lo, v9, v8
	v_add_co_ci_u32_e32 v9, vcc_lo, 0, v10, vcc_lo
	v_add_co_u32 v4, vcc_lo, v4, v8
	v_add_co_ci_u32_e32 v11, vcc_lo, v7, v9, vcc_lo
	v_mul_hi_u32 v13, v5, v4
	v_mad_u64_u32 v[9:10], null, v6, v4, 0
	v_mad_u64_u32 v[7:8], null, v5, v11, 0
	;; [unrolled: 1-line block ×3, first 2 shown]
	v_add_co_u32 v4, vcc_lo, v13, v7
	v_add_co_ci_u32_e32 v7, vcc_lo, 0, v8, vcc_lo
	v_add_co_u32 v4, vcc_lo, v4, v9
	v_add_co_ci_u32_e32 v4, vcc_lo, v7, v10, vcc_lo
	v_add_co_ci_u32_e32 v7, vcc_lo, 0, v12, vcc_lo
	v_add_co_u32 v4, vcc_lo, v4, v11
	v_add_co_ci_u32_e32 v9, vcc_lo, 0, v7, vcc_lo
	v_mul_lo_u32 v10, s19, v4
	v_mad_u64_u32 v[7:8], null, s18, v4, 0
	v_mul_lo_u32 v11, s18, v9
	v_sub_co_u32 v7, vcc_lo, v5, v7
	v_add3_u32 v8, v8, v11, v10
	v_sub_nc_u32_e32 v10, v6, v8
	v_subrev_co_ci_u32_e64 v10, s0, s19, v10, vcc_lo
	v_add_co_u32 v11, s0, v4, 2
	v_add_co_ci_u32_e64 v12, s0, 0, v9, s0
	v_sub_co_u32 v13, s0, v7, s18
	v_sub_co_ci_u32_e32 v8, vcc_lo, v6, v8, vcc_lo
	v_subrev_co_ci_u32_e64 v10, s0, 0, v10, s0
	v_cmp_le_u32_e32 vcc_lo, s18, v13
	v_cmp_eq_u32_e64 s0, s19, v8
	v_cndmask_b32_e64 v13, 0, -1, vcc_lo
	v_cmp_le_u32_e32 vcc_lo, s19, v10
	v_cndmask_b32_e64 v14, 0, -1, vcc_lo
	v_cmp_le_u32_e32 vcc_lo, s18, v7
	;; [unrolled: 2-line block ×3, first 2 shown]
	v_cndmask_b32_e64 v15, 0, -1, vcc_lo
	v_cmp_eq_u32_e32 vcc_lo, s19, v10
	v_cndmask_b32_e64 v7, v15, v7, s0
	v_cndmask_b32_e32 v10, v14, v13, vcc_lo
	v_add_co_u32 v13, vcc_lo, v4, 1
	v_add_co_ci_u32_e32 v14, vcc_lo, 0, v9, vcc_lo
	v_cmp_ne_u32_e32 vcc_lo, 0, v10
	v_cndmask_b32_e32 v8, v14, v12, vcc_lo
	v_cndmask_b32_e32 v10, v13, v11, vcc_lo
	v_cmp_ne_u32_e32 vcc_lo, 0, v7
	v_cndmask_b32_e32 v8, v9, v8, vcc_lo
	v_cndmask_b32_e32 v7, v4, v10, vcc_lo
.LBB0_4:                                ;   in Loop: Header=BB0_2 Depth=1
	s_andn2_saveexec_b32 s0, s1
	s_cbranch_execz .LBB0_6
; %bb.5:                                ;   in Loop: Header=BB0_2 Depth=1
	v_cvt_f32_u32_e32 v4, s18
	s_sub_i32 s1, 0, s18
	v_rcp_iflag_f32_e32 v4, v4
	v_mul_f32_e32 v4, 0x4f7ffffe, v4
	v_cvt_u32_f32_e32 v4, v4
	v_mul_lo_u32 v7, s1, v4
	v_mul_hi_u32 v7, v4, v7
	v_add_nc_u32_e32 v4, v4, v7
	v_mul_hi_u32 v4, v5, v4
	v_mul_lo_u32 v7, v4, s18
	v_add_nc_u32_e32 v8, 1, v4
	v_sub_nc_u32_e32 v7, v5, v7
	v_subrev_nc_u32_e32 v9, s18, v7
	v_cmp_le_u32_e32 vcc_lo, s18, v7
	v_cndmask_b32_e32 v7, v7, v9, vcc_lo
	v_cndmask_b32_e32 v4, v4, v8, vcc_lo
	v_cmp_le_u32_e32 vcc_lo, s18, v7
	v_add_nc_u32_e32 v8, 1, v4
	v_cndmask_b32_e32 v7, v4, v8, vcc_lo
	v_mov_b32_e32 v8, v3
.LBB0_6:                                ;   in Loop: Header=BB0_2 Depth=1
	s_or_b32 exec_lo, exec_lo, s0
	s_load_dwordx2 s[0:1], s[6:7], 0x0
	v_mul_lo_u32 v4, v8, s18
	v_mul_lo_u32 v11, v7, s19
	v_mad_u64_u32 v[9:10], null, v7, s18, 0
	s_add_u32 s16, s16, 1
	s_addc_u32 s17, s17, 0
	s_add_u32 s6, s6, 8
	s_addc_u32 s7, s7, 0
	;; [unrolled: 2-line block ×3, first 2 shown]
	v_add3_u32 v4, v10, v11, v4
	v_sub_co_u32 v5, vcc_lo, v5, v9
	v_sub_co_ci_u32_e32 v4, vcc_lo, v6, v4, vcc_lo
	s_waitcnt lgkmcnt(0)
	v_mul_lo_u32 v6, s1, v5
	v_mul_lo_u32 v4, s0, v4
	v_mad_u64_u32 v[1:2], null, s0, v5, v[1:2]
	v_cmp_ge_u64_e64 s0, s[16:17], s[10:11]
	s_and_b32 vcc_lo, exec_lo, s0
	v_add3_u32 v2, v6, v2, v4
	s_cbranch_vccnz .LBB0_9
; %bb.7:                                ;   in Loop: Header=BB0_2 Depth=1
	v_mov_b32_e32 v5, v7
	v_mov_b32_e32 v6, v8
	s_branch .LBB0_2
.LBB0_8:
	v_mov_b32_e32 v8, v6
	v_mov_b32_e32 v7, v5
.LBB0_9:
	s_lshl_b64 s[0:1], s[10:11], 3
	v_mul_hi_u32 v5, 0x20c49bb, v0
	s_add_u32 s0, s12, s0
	s_addc_u32 s1, s13, s1
                                        ; implicit-def: $vgpr62_vgpr63
                                        ; implicit-def: $vgpr78_vgpr79
                                        ; implicit-def: $vgpr74_vgpr75
                                        ; implicit-def: $vgpr66_vgpr67
                                        ; implicit-def: $vgpr90_vgpr91
                                        ; implicit-def: $vgpr86_vgpr87
                                        ; implicit-def: $vgpr70_vgpr71
                                        ; implicit-def: $vgpr102_vgpr103
                                        ; implicit-def: $vgpr98_vgpr99
                                        ; implicit-def: $vgpr82_vgpr83
                                        ; implicit-def: $vgpr110_vgpr111
                                        ; implicit-def: $vgpr114_vgpr115
                                        ; implicit-def: $vgpr94_vgpr95
                                        ; implicit-def: $vgpr118_vgpr119
                                        ; implicit-def: $vgpr122_vgpr123
                                        ; implicit-def: $vgpr106_vgpr107
                                        ; implicit-def: $vgpr126_vgpr127
                                        ; implicit-def: $vgpr130_vgpr131
                                        ; implicit-def: $vgpr12_vgpr13
                                        ; implicit-def: $vgpr20_vgpr21
                                        ; implicit-def: $vgpr16_vgpr17
                                        ; implicit-def: $vgpr24_vgpr25
                                        ; implicit-def: $vgpr40_vgpr41
                                        ; implicit-def: $vgpr44_vgpr45
                                        ; implicit-def: $vgpr36_vgpr37
                                        ; implicit-def: $vgpr134_vgpr135
                                        ; implicit-def: $vgpr32_vgpr33
                                        ; implicit-def: $vgpr28_vgpr29
	s_load_dwordx2 s[0:1], s[0:1], 0x0
	s_load_dwordx2 s[4:5], s[4:5], 0x20
	s_waitcnt lgkmcnt(0)
	v_mul_lo_u32 v3, s0, v8
	v_mul_lo_u32 v4, s1, v7
	v_mad_u64_u32 v[1:2], null, s0, v7, v[1:2]
	v_cmp_gt_u64_e32 vcc_lo, s[4:5], v[7:8]
                                        ; implicit-def: $vgpr6_vgpr7
	v_add3_u32 v2, v4, v2, v3
	v_mul_u32_u24_e32 v3, 0x7d, v5
	v_lshlrev_b64 v[1:2], 4, v[1:2]
	v_sub_nc_u32_e32 v159, v0, v3
	buffer_store_dword v1, off, s[24:27], 0 ; 4-byte Folded Spill
	buffer_store_dword v2, off, s[24:27], 0 offset:4 ; 4-byte Folded Spill
                                        ; implicit-def: $vgpr2_vgpr3
	s_and_saveexec_b32 s1, vcc_lo
	s_cbranch_execz .LBB0_11
; %bb.10:
	s_clause 0x1
	buffer_load_dword v2, off, s[24:27], 0
	buffer_load_dword v3, off, s[24:27], 0 offset:4
	v_mov_b32_e32 v160, 0
	v_lshlrev_b64 v[0:1], 4, v[159:160]
	s_waitcnt vmcnt(1)
	v_add_co_u32 v2, s0, s2, v2
	s_waitcnt vmcnt(0)
	v_add_co_ci_u32_e64 v3, s0, s3, v3, s0
	v_add_co_u32 v0, s0, v2, v0
	v_add_co_ci_u32_e64 v1, s0, v3, v1, s0
	v_add_co_u32 v2, s0, 0x4800, v0
	;; [unrolled: 2-line block ×29, first 2 shown]
	v_add_co_ci_u32_e64 v143, s0, 0, v1, s0
	s_clause 0x1d
	global_load_dwordx4 v[30:33], v[2:3], off offset:1568
	global_load_dwordx4 v[132:135], v[4:5], off offset:1088
	global_load_dwordx4 v[26:29], v[0:1], off
	global_load_dwordx4 v[34:37], v[0:1], off offset:2000
	global_load_dwordx4 v[42:45], v[6:7], off offset:1520
	global_load_dwordx4 v[38:41], v[8:9], off offset:1040
	global_load_dwordx4 v[22:25], v[10:11], off offset:1952
	global_load_dwordx4 v[14:17], v[12:13], off offset:1472
	global_load_dwordx4 v[18:21], v[18:19], off offset:992
	global_load_dwordx4 v[4:7], v[46:47], off offset:1904
	global_load_dwordx4 v[0:3], v[48:49], off offset:1424
	global_load_dwordx4 v[10:13], v[50:51], off offset:944
	global_load_dwordx4 v[128:131], v[52:53], off offset:1856
	global_load_dwordx4 v[124:127], v[54:55], off offset:1376
	global_load_dwordx4 v[104:107], v[56:57], off offset:896
	global_load_dwordx4 v[120:123], v[58:59], off offset:1808
	global_load_dwordx4 v[116:119], v[60:61], off offset:1328
	global_load_dwordx4 v[92:95], v[62:63], off offset:848
	global_load_dwordx4 v[112:115], v[64:65], off offset:1760
	global_load_dwordx4 v[108:111], v[66:67], off offset:1280
	global_load_dwordx4 v[80:83], v[68:69], off offset:800
	global_load_dwordx4 v[96:99], v[70:71], off offset:1712
	global_load_dwordx4 v[100:103], v[72:73], off offset:1232
	global_load_dwordx4 v[68:71], v[74:75], off offset:752
	global_load_dwordx4 v[84:87], v[76:77], off offset:1664
	global_load_dwordx4 v[88:91], v[78:79], off offset:1184
	global_load_dwordx4 v[64:67], v[136:137], off offset:704
	global_load_dwordx4 v[72:75], v[138:139], off offset:1616
	global_load_dwordx4 v[76:79], v[140:141], off offset:1136
	global_load_dwordx4 v[60:63], v[142:143], off offset:656
.LBB0_11:
	s_or_b32 exec_lo, exec_lo, s1
	s_waitcnt vmcnt(28)
	v_add_f64 v[8:9], v[132:133], v[30:31]
	s_waitcnt vmcnt(21)
	v_add_f64 v[48:49], v[18:19], v[14:15]
	v_add_f64 v[46:47], v[38:39], v[42:43]
	s_waitcnt vmcnt(18)
	v_add_f64 v[50:51], v[10:11], v[0:1]
	v_add_f64 v[52:53], v[42:43], v[34:35]
	;; [unrolled: 1-line block ×3, first 2 shown]
	v_add_f64 v[56:57], v[32:33], -v[134:135]
	v_add_f64 v[58:59], v[44:45], v[36:37]
	v_add_f64 v[139:140], v[42:43], -v[38:39]
	v_add_f64 v[42:43], v[14:15], v[22:23]
	v_add_f64 v[143:144], v[0:1], v[4:5]
	s_waitcnt vmcnt(15)
	v_add_f64 v[147:148], v[104:105], v[124:125]
	s_waitcnt vmcnt(6)
	;; [unrolled: 2-line block ×3, first 2 shown]
	v_add_f64 v[165:166], v[60:61], v[76:77]
	v_add_f64 v[137:138], v[40:41], v[44:45]
	v_add_f64 v[44:45], v[44:45], -v[40:41]
	v_add_f64 v[151:152], v[80:81], v[108:109]
	v_add_f64 v[163:164], v[64:65], v[88:89]
	v_add_f64 v[141:142], v[16:17], -v[20:21]
	v_add_f64 v[145:146], v[2:3], -v[12:13]
	s_mov_b32 s0, 0xe8584caa
	s_mov_b32 s1, 0xbfebb67a
	v_fma_f64 v[8:9], v[8:9], -0.5, v[26:27]
	v_fma_f64 v[22:23], v[48:49], -0.5, v[22:23]
	v_add_f64 v[48:49], v[92:93], v[116:117]
	v_fma_f64 v[26:27], v[46:47], -0.5, v[34:35]
	v_fma_f64 v[4:5], v[50:51], -0.5, v[4:5]
	v_add_f64 v[34:35], v[124:125], v[128:129]
	v_add_f64 v[46:47], v[126:127], -v[106:107]
	v_add_f64 v[50:51], v[118:119], -v[94:95]
	v_add_f64 v[149:150], v[116:117], v[120:121]
	v_add_f64 v[167:168], v[100:101], v[96:97]
	;; [unrolled: 1-line block ×5, first 2 shown]
	v_fma_f64 v[128:129], v[147:148], -0.5, v[128:129]
	v_add_f64 v[173:174], v[102:103], -v[70:71]
	v_add_f64 v[179:180], v[78:79], -v[62:63]
	v_add_f64 v[153:154], v[110:111], -v[82:83]
	v_add_f64 v[157:158], v[108:109], v[112:113]
	v_add_f64 v[175:176], v[88:89], v[84:85]
	v_add_f64 v[177:178], v[90:91], -v[66:67]
	v_fma_f64 v[112:113], v[151:152], -0.5, v[112:113]
	v_add_f64 v[42:43], v[18:19], v[42:43]
	v_fma_f64 v[143:144], v[56:57], s[0:1], v[8:9]
	v_fma_f64 v[169:170], v[141:142], s[0:1], v[22:23]
	v_fma_f64 v[48:49], v[48:49], -0.5, v[120:121]
	v_add_f64 v[120:121], v[40:41], v[58:59]
	v_fma_f64 v[40:41], v[155:156], -0.5, v[96:97]
	v_fma_f64 v[58:59], v[165:166], -0.5, v[72:73]
	v_fma_f64 v[147:148], v[44:45], s[0:1], v[26:27]
	v_fma_f64 v[96:97], v[137:138], -0.5, v[36:37]
	v_fma_f64 v[36:37], v[163:164], -0.5, v[84:85]
	v_add_f64 v[181:182], v[76:77], v[72:73]
	v_fma_f64 v[171:172], v[145:146], s[0:1], v[4:5]
	v_mad_u32_u24 v136, v159, 24, 0
	v_mov_b32_e32 v183, v159
	s_mov_b32 s5, 0x3febb67a
	s_mov_b32 s4, s0
	v_add_f64 v[34:35], v[104:105], v[34:35]
	v_add_nc_u32_e32 v159, 0xbb8, v136
	v_add_nc_u32_e32 v160, 0x1770, v136
	v_add_nc_u32_e32 v161, 0x2328, v136
	v_fma_f64 v[72:73], v[46:47], s[0:1], v[128:129]
	v_fma_f64 v[8:9], v[56:57], s[4:5], v[8:9]
	;; [unrolled: 1-line block ×3, first 2 shown]
	ds_write2_b64 v136, v[54:55], v[143:144] offset1:1
	ds_write2_b64 v159, v[38:39], v[147:148] offset1:1
	;; [unrolled: 1-line block ×4, first 2 shown]
	v_fma_f64 v[42:43], v[46:47], s[4:5], v[128:129]
	v_fma_f64 v[44:45], v[50:51], s[0:1], v[48:49]
	;; [unrolled: 1-line block ×3, first 2 shown]
	v_add_f64 v[54:55], v[68:69], v[167:168]
	v_fma_f64 v[56:57], v[173:174], s[0:1], v[40:41]
	v_fma_f64 v[40:41], v[173:174], s[4:5], v[40:41]
	;; [unrolled: 1-line block ×4, first 2 shown]
	v_add_f64 v[38:39], v[92:93], v[149:150]
	v_fma_f64 v[48:49], v[153:154], s[0:1], v[112:113]
	v_fma_f64 v[50:51], v[153:154], s[4:5], v[112:113]
	v_add_f64 v[52:53], v[80:81], v[157:158]
	v_add_f64 v[84:85], v[64:65], v[175:176]
	v_fma_f64 v[112:113], v[177:178], s[0:1], v[36:37]
	v_fma_f64 v[36:37], v[177:178], s[4:5], v[36:37]
	v_add_f64 v[128:129], v[60:61], v[181:182]
	v_fma_f64 v[22:23], v[141:142], s[4:5], v[22:23]
	v_fma_f64 v[4:5], v[145:146], s[4:5], v[4:5]
	v_add_nc_u32_e32 v162, 0x2ee0, v136
	v_add_nc_u32_e32 v167, 0x3aa0, v136
	v_add_nc_u32_e32 v169, 0x5208, v136
	v_add_nc_u32_e32 v171, 0x6980, v136
	v_add_nc_u32_e32 v170, 0x5dc0, v136
	v_add_nc_u32_e32 v168, 0x4658, v136
	ds_write2_b64 v162, v[34:35], v[72:73] offset1:1
	ds_write_b64 v136, v[38:39] offset:15000
	ds_write_b64 v136, v[8:9] offset:16
	;; [unrolled: 1-line block ×6, first 2 shown]
	ds_write2_b64 v167, v[44:45], v[46:47] offset1:1
	ds_write_b64 v136, v[52:53] offset:18000
	ds_write2_b64 v168, v[48:49], v[50:51] offset1:1
	v_add_f64 v[4:5], v[20:21], v[16:17]
	ds_write2_b64 v169, v[54:55], v[56:57] offset1:1
	ds_write2_b64 v170, v[84:85], v[112:113] offset1:1
	v_add_f64 v[8:9], v[12:13], v[2:3]
	ds_write_b64 v136, v[40:41] offset:21016
	ds_write_b64 v136, v[36:37] offset:24016
	;; [unrolled: 1-line block ×3, first 2 shown]
	ds_write2_b64 v171, v[137:138], v[58:59] offset1:1
	v_add_f64 v[137:138], v[134:135], v[32:33]
	v_add_f64 v[22:23], v[16:17], v[24:25]
	v_add_f64 v[84:85], v[14:15], -v[18:19]
	v_add_f64 v[14:15], v[2:3], v[6:7]
	v_fma_f64 v[141:142], v[139:140], s[4:5], v[96:97]
	v_mov_b32_e32 v179, v183
	v_add_f64 v[153:154], v[106:107], v[126:127]
	v_add_f64 v[157:158], v[82:83], v[110:111]
	;; [unrolled: 1-line block ×4, first 2 shown]
	v_lshl_add_u32 v181, v179, 3, 0
	v_add_f64 v[165:166], v[66:67], v[90:91]
	v_add_f64 v[128:129], v[0:1], -v[10:11]
	v_add_f64 v[151:152], v[32:33], v[28:29]
	v_add_f64 v[132:133], v[30:31], -v[132:133]
	v_add_nc_u32_e32 v186, 0x2c00, v181
	v_add_nc_u32_e32 v191, 0x6400, v181
	;; [unrolled: 1-line block ×7, first 2 shown]
	v_fma_f64 v[72:73], v[4:5], -0.5, v[24:25]
	v_fma_f64 v[112:113], v[8:9], -0.5, v[6:7]
	v_add_nc_u32_e32 v200, 0xc00, v181
	v_add_nc_u32_e32 v192, 0x5400, v181
	v_fma_f64 v[137:138], v[137:138], -0.5, v[28:29]
	v_add_f64 v[118:119], v[118:119], v[122:123]
	v_add_nc_u32_e32 v185, 0x5c00, v181
	v_add_nc_u32_e32 v187, 0x400, v181
	;; [unrolled: 1-line block ×3, first 2 shown]
	s_waitcnt lgkmcnt(0)
	s_waitcnt_vscnt null, 0x0
	s_barrier
	buffer_gl0_inv
	v_add_nc_u32_e32 v197, 0x3400, v181
	v_add_nc_u32_e32 v183, 0x4c00, v181
	ds_read2_b64 v[8:11], v181 offset1:125
	ds_read2_b64 v[52:55], v190 offset0:110 offset1:235
	ds_read2_b64 v[56:59], v186 offset0:92 offset1:217
	;; [unrolled: 1-line block ×10, first 2 shown]
	v_add_f64 v[143:144], v[20:21], v[22:23]
	v_add_f64 v[147:148], v[12:13], v[14:15]
	ds_read2_b64 v[20:23], v193 offset0:98 offset1:223
	ds_read2_b64 v[32:35], v195 offset0:80 offset1:205
	;; [unrolled: 1-line block ×4, first 2 shown]
	s_waitcnt lgkmcnt(0)
	s_barrier
	buffer_gl0_inv
	ds_write2_b64 v159, v[120:121], v[141:142] offset1:1
	v_add_f64 v[120:121], v[62:63], v[78:79]
	v_add_f64 v[126:127], v[126:127], v[130:131]
	;; [unrolled: 1-line block ×4, first 2 shown]
	v_fma_f64 v[130:131], v[153:154], -0.5, v[130:131]
	v_add_f64 v[104:105], v[124:125], -v[104:105]
	v_add_f64 v[78:79], v[78:79], v[74:75]
	v_fma_f64 v[114:115], v[157:158], -0.5, v[114:115]
	v_add_f64 v[80:81], v[108:109], -v[80:81]
	v_add_f64 v[90:91], v[90:91], v[86:87]
	v_fma_f64 v[122:123], v[155:156], -0.5, v[122:123]
	v_add_f64 v[92:93], v[116:117], -v[92:93]
	v_add_f64 v[68:69], v[100:101], -v[68:69]
	v_fma_f64 v[98:99], v[163:164], -0.5, v[98:99]
	v_add_f64 v[64:65], v[88:89], -v[64:65]
	v_fma_f64 v[86:87], v[165:166], -0.5, v[86:87]
	v_fma_f64 v[145:146], v[84:85], s[4:5], v[72:73]
	v_fma_f64 v[149:150], v[128:129], s[4:5], v[112:113]
	v_add_f64 v[134:135], v[134:135], v[151:152]
	v_fma_f64 v[124:125], v[132:133], s[4:5], v[137:138]
	v_add_f64 v[88:89], v[94:95], v[118:119]
	v_fma_f64 v[94:95], v[132:133], s[0:1], v[137:138]
	v_fma_f64 v[72:73], v[84:85], s[0:1], v[72:73]
	;; [unrolled: 1-line block ×3, first 2 shown]
	v_add_f64 v[60:61], v[76:77], -v[60:61]
	v_fma_f64 v[74:75], v[120:121], -0.5, v[74:75]
	v_add_f64 v[70:71], v[70:71], v[102:103]
	v_fma_f64 v[84:85], v[128:129], s[0:1], v[112:113]
	v_add_f64 v[62:63], v[62:63], v[78:79]
	v_fma_f64 v[78:79], v[104:105], s[0:1], v[130:131]
	v_fma_f64 v[102:103], v[80:81], s[4:5], v[114:115]
	;; [unrolled: 1-line block ×3, first 2 shown]
	v_add_f64 v[76:77], v[106:107], v[126:127]
	v_add_f64 v[66:67], v[66:67], v[90:91]
	v_fma_f64 v[90:91], v[104:105], s[4:5], v[130:131]
	v_fma_f64 v[100:101], v[92:93], s[4:5], v[122:123]
	;; [unrolled: 1-line block ×4, first 2 shown]
	v_add_f64 v[82:83], v[82:83], v[110:111]
	v_fma_f64 v[68:69], v[68:69], s[0:1], v[98:99]
	v_add_nc_u32_e32 v180, 0x7d, v179
	v_fma_f64 v[98:99], v[64:65], s[4:5], v[86:87]
	v_and_b32_e32 v202, 0xff, v179
	ds_write2_b64 v160, v[143:144], v[145:146] offset1:1
	ds_write2_b64 v161, v[147:148], v[149:150] offset1:1
	;; [unrolled: 1-line block ×3, first 2 shown]
	ds_write_b64 v136, v[94:95] offset:16
	ds_write_b64 v136, v[96:97] offset:3016
	;; [unrolled: 1-line block ×3, first 2 shown]
	v_and_b32_e32 v72, 0xff, v180
	v_fma_f64 v[64:65], v[64:65], s[0:1], v[86:87]
	v_fma_f64 v[86:87], v[60:61], s[4:5], v[74:75]
	;; [unrolled: 1-line block ×3, first 2 shown]
	v_mul_lo_u16 v74, 0xab, v202
	v_mul_lo_u16 v72, 0xab, v72
	ds_write_b64 v136, v[84:85] offset:9016
	ds_write2_b64 v162, v[76:77], v[90:91] offset1:1
	ds_write_b64 v136, v[78:79] offset:12016
	v_lshrrev_b16 v166, 9, v74
	v_lshrrev_b16 v164, 9, v72
	ds_write_b64 v136, v[88:89] offset:15000
	ds_write2_b64 v167, v[100:101], v[92:93] offset1:1
	ds_write_b64 v136, v[82:83] offset:18000
	ds_write2_b64 v168, v[102:103], v[80:81] offset1:1
	ds_write2_b64 v169, v[70:71], v[104:105] offset1:1
	ds_write_b64 v136, v[68:69] offset:21016
	ds_write2_b64 v170, v[66:67], v[98:99] offset1:1
	v_mov_b32_e32 v201, 6
	v_mul_lo_u16 v73, v166, 3
	v_mul_lo_u16 v66, v164, 3
	v_add_nc_u32_e32 v188, 0xfa, v179
	v_mov_b32_e32 v96, 0xaaab
	ds_write_b64 v136, v[64:65] offset:24016
	ds_write_b64 v136, v[62:63] offset:27000
	v_sub_nc_u16 v165, v179, v73
	v_sub_nc_u16 v163, v180, v66
	v_mul_u32_u24_sdwa v82, v188, v96 dst_sel:DWORD dst_unused:UNUSED_PAD src0_sel:WORD_0 src1_sel:DWORD
	ds_write2_b64 v171, v[86:87], v[60:61] offset1:1
	s_waitcnt lgkmcnt(0)
	v_lshlrev_b32_sdwa v80, v201, v165 dst_sel:DWORD dst_unused:UNUSED_PAD src0_sel:DWORD src1_sel:BYTE_0
	v_lshlrev_b32_sdwa v81, v201, v163 dst_sel:DWORD dst_unused:UNUSED_PAD src0_sel:DWORD src1_sel:BYTE_0
	s_barrier
	buffer_gl0_inv
	s_clause 0x3
	global_load_dwordx4 v[60:63], v80, s[8:9]
	global_load_dwordx4 v[72:75], v81, s[8:9]
	global_load_dwordx4 v[68:71], v80, s[8:9] offset:16
	global_load_dwordx4 v[64:67], v81, s[8:9] offset:16
	v_add_nc_u32_e32 v182, 0x177, v179
	v_lshrrev_b32_e32 v168, 17, v82
	s_clause 0x2
	global_load_dwordx4 v[76:79], v80, s[8:9] offset:32
	global_load_dwordx4 v[88:91], v80, s[8:9] offset:48
	;; [unrolled: 1-line block ×3, first 2 shown]
	v_mul_u32_u24_sdwa v83, v182, v96 dst_sel:DWORD dst_unused:UNUSED_PAD src0_sel:WORD_0 src1_sel:DWORD
	v_mul_lo_u16 v82, v168, 3
	v_add_nc_u32_e32 v196, 0x1f4, v179
	v_add_nc_u32_e32 v198, 0x271, v179
	v_mov_b32_e32 v160, 0x78
	v_lshrrev_b32_e32 v203, 17, v83
	v_sub_nc_u16 v167, v188, v82
	v_mul_u32_u24_sdwa v97, v196, v96 dst_sel:DWORD dst_unused:UNUSED_PAD src0_sel:WORD_0 src1_sel:DWORD
	v_mul_u32_u24_sdwa v96, v198, v96 dst_sel:DWORD dst_unused:UNUSED_PAD src0_sel:WORD_0 src1_sel:DWORD
	v_mov_b32_e32 v199, 3
	v_mul_lo_u16 v92, v203, 3
	v_lshlrev_b32_sdwa v104, v201, v167 dst_sel:DWORD dst_unused:UNUSED_PAD src0_sel:DWORD src1_sel:WORD_0
	v_lshrrev_b32_e32 v205, 17, v97
	v_lshrrev_b32_e32 v206, 17, v96
	v_mul_u32_u24_sdwa v161, v166, v160 dst_sel:DWORD dst_unused:UNUSED_PAD src0_sel:WORD_0 src1_sel:DWORD
	v_sub_nc_u16 v204, v182, v92
	s_clause 0x2
	global_load_dwordx4 v[92:95], v104, s[8:9]
	global_load_dwordx4 v[80:83], v81, s[8:9] offset:48
	global_load_dwordx4 v[100:103], v104, s[8:9] offset:16
	v_mul_lo_u16 v105, v205, 3
	v_lshlrev_b32_sdwa v120, v201, v204 dst_sel:DWORD dst_unused:UNUSED_PAD src0_sel:DWORD src1_sel:WORD_0
	v_mul_lo_u16 v106, v206, 3
	global_load_dwordx4 v[108:111], v104, s[8:9] offset:32
	v_mul_u32_u24_e32 v162, 0x78, v168
	v_sub_nc_u16 v208, v196, v105
	s_clause 0x1
	global_load_dwordx4 v[116:119], v120, s[8:9]
	global_load_dwordx4 v[96:99], v120, s[8:9] offset:16
	v_sub_nc_u16 v207, v198, v106
	global_load_dwordx4 v[104:107], v104, s[8:9] offset:48
	v_lshlrev_b32_sdwa v148, v201, v208 dst_sel:DWORD dst_unused:UNUSED_PAD src0_sel:DWORD src1_sel:WORD_0
	s_clause 0x1
	global_load_dwordx4 v[112:115], v120, s[8:9] offset:32
	global_load_dwordx4 v[120:123], v120, s[8:9] offset:48
	v_lshlrev_b32_sdwa v152, v201, v207 dst_sel:DWORD dst_unused:UNUSED_PAD src0_sel:DWORD src1_sel:WORD_0
	s_clause 0x7
	global_load_dwordx4 v[124:127], v148, s[8:9]
	global_load_dwordx4 v[128:131], v152, s[8:9]
	global_load_dwordx4 v[132:135], v148, s[8:9] offset:16
	global_load_dwordx4 v[136:139], v152, s[8:9] offset:16
	;; [unrolled: 1-line block ×6, first 2 shown]
	ds_read2_b64 v[156:159], v190 offset0:110 offset1:235
	ds_read2_b64 v[169:172], v186 offset0:92 offset1:217
	v_mul_u32_u24_sdwa v160, v164, v160 dst_sel:DWORD dst_unused:UNUSED_PAD src0_sel:WORD_0 src1_sel:DWORD
	v_lshlrev_b32_sdwa v168, v199, v165 dst_sel:DWORD dst_unused:UNUSED_PAD src0_sel:DWORD src1_sel:BYTE_0
	v_lshlrev_b32_sdwa v173, v199, v167 dst_sel:DWORD dst_unused:UNUSED_PAD src0_sel:DWORD src1_sel:WORD_0
	ds_read2_b64 v[175:178], v184 offset0:74 offset1:199
	ds_read2_b64 v[212:215], v185 offset0:56 offset1:181
	;; [unrolled: 1-line block ×3, first 2 shown]
	v_lshlrev_b32_sdwa v163, v199, v163 dst_sel:DWORD dst_unused:UNUSED_PAD src0_sel:DWORD src1_sel:BYTE_0
	v_add3_u32 v211, 0, v161, v168
	v_add3_u32 v209, 0, v162, v173
	ds_read2_b64 v[220:223], v197 offset0:86 offset1:211
	ds_read2_b64 v[224:227], v183 offset0:68 offset1:193
	;; [unrolled: 1-line block ×5, first 2 shown]
	v_add3_u32 v210, 0, v160, v163
	ds_read2_b64 v[240:243], v192 offset0:62 offset1:187
	s_mov_b32 s4, 0x134454ff
	s_mov_b32 s5, 0xbfee6f0e
	;; [unrolled: 1-line block ×10, first 2 shown]
	v_cmp_gt_u32_e64 s0, 0x4b, v179
	s_mov_b32 s16, 0x9b97f4a8
	s_mov_b32 s17, 0x3fe9e377
	;; [unrolled: 1-line block ×6, first 2 shown]
	s_waitcnt vmcnt(23) lgkmcnt(10)
	v_mul_f64 v[164:165], v[156:157], v[62:63]
	v_mul_f64 v[62:63], v[52:53], v[62:63]
	s_waitcnt vmcnt(22)
	v_mul_f64 v[166:167], v[158:159], v[74:75]
	v_mul_f64 v[74:75], v[54:55], v[74:75]
	s_waitcnt vmcnt(21)
	v_mul_f64 v[244:245], v[56:57], v[70:71]
	s_waitcnt vmcnt(20) lgkmcnt(9)
	v_mul_f64 v[246:247], v[171:172], v[66:67]
	v_mul_f64 v[248:249], v[58:59], v[66:67]
	;; [unrolled: 1-line block ×3, first 2 shown]
	s_waitcnt vmcnt(19) lgkmcnt(8)
	v_mul_f64 v[250:251], v[175:176], v[78:79]
	v_mul_f64 v[78:79], v[48:49], v[78:79]
	v_fma_f64 v[252:253], v[52:53], v[60:61], v[164:165]
	v_fma_f64 v[254:255], v[156:157], v[60:61], -v[62:63]
	v_fma_f64 v[167:168], v[54:55], v[72:73], v[166:167]
	s_waitcnt vmcnt(17)
	v_mul_f64 v[156:157], v[177:178], v[86:87]
	v_fma_f64 v[163:164], v[158:159], v[72:73], -v[74:75]
	v_mul_f64 v[74:75], v[50:51], v[86:87]
	v_fma_f64 v[244:245], v[169:170], v[68:69], -v[244:245]
	s_waitcnt lgkmcnt(7)
	v_mul_f64 v[86:87], v[212:213], v[90:91]
	v_mul_f64 v[90:91], v[44:45], v[90:91]
	v_fma_f64 v[169:170], v[58:59], v[64:65], v[246:247]
	v_fma_f64 v[165:166], v[171:172], v[64:65], -v[248:249]
	s_waitcnt vmcnt(15)
	v_mul_f64 v[64:65], v[46:47], v[82:83]
	v_mul_f64 v[58:59], v[214:215], v[82:83]
	v_fma_f64 v[48:49], v[48:49], v[76:77], v[250:251]
	v_fma_f64 v[246:247], v[175:176], v[76:77], -v[78:79]
	s_waitcnt lgkmcnt(6)
	v_mul_f64 v[76:77], v[216:217], v[94:95]
	v_mul_f64 v[78:79], v[40:41], v[94:95]
	s_waitcnt vmcnt(12)
	v_mul_f64 v[82:83], v[42:43], v[118:119]
	s_waitcnt vmcnt(11) lgkmcnt(5)
	v_mul_f64 v[94:95], v[222:223], v[98:99]
	v_fma_f64 v[56:57], v[56:57], v[68:69], v[173:174]
	v_mul_f64 v[98:99], v[38:39], v[98:99]
	ds_read2_b64 v[52:55], v194 offset0:44 offset1:169
	ds_read2_b64 v[70:73], v181 offset1:125
	ds_read2_b64 v[66:69], v187 offset0:122 offset1:247
	ds_read2_b64 v[60:63], v200 offset0:116 offset1:241
	v_fma_f64 v[175:176], v[50:51], v[84:85], v[156:157]
	v_mul_f64 v[50:51], v[218:219], v[118:119]
	v_fma_f64 v[171:172], v[177:178], v[84:85], -v[74:75]
	v_mul_f64 v[74:75], v[220:221], v[102:103]
	v_mul_f64 v[84:85], v[36:37], v[102:103]
	v_fma_f64 v[44:45], v[44:45], v[88:89], v[86:87]
	v_fma_f64 v[212:213], v[212:213], v[88:89], -v[90:91]
	s_waitcnt lgkmcnt(8)
	v_mul_f64 v[88:89], v[224:225], v[110:111]
	v_fma_f64 v[158:159], v[214:215], v[80:81], -v[64:65]
	s_waitcnt vmcnt(10) lgkmcnt(7)
	v_mul_f64 v[64:65], v[228:229], v[106:107]
	v_mul_f64 v[90:91], v[24:25], v[110:111]
	v_fma_f64 v[177:178], v[46:47], v[80:81], v[58:59]
	s_waitcnt vmcnt(9)
	v_mul_f64 v[46:47], v[226:227], v[114:115]
	v_mul_f64 v[58:59], v[26:27], v[114:115]
	;; [unrolled: 1-line block ×3, first 2 shown]
	s_waitcnt vmcnt(8)
	v_mul_f64 v[110:111], v[230:231], v[122:123]
	v_fma_f64 v[173:174], v[40:41], v[92:93], v[76:77]
	v_fma_f64 v[156:157], v[216:217], v[92:93], -v[78:79]
	s_waitcnt vmcnt(7) lgkmcnt(6)
	v_mul_f64 v[40:41], v[232:233], v[126:127]
	v_mul_f64 v[76:77], v[20:21], v[126:127]
	v_fma_f64 v[86:87], v[218:219], v[116:117], -v[82:83]
	s_waitcnt vmcnt(5) lgkmcnt(5)
	v_mul_f64 v[78:79], v[236:237], v[134:135]
	v_mul_f64 v[82:83], v[32:33], v[134:135]
	v_fma_f64 v[118:119], v[42:43], v[116:117], v[50:51]
	v_mul_f64 v[42:43], v[234:235], v[130:131]
	v_mul_f64 v[50:51], v[22:23], v[130:131]
	s_waitcnt vmcnt(4)
	v_mul_f64 v[116:117], v[238:239], v[138:139]
	v_mul_f64 v[214:215], v[34:35], v[138:139]
	v_fma_f64 v[130:131], v[36:37], v[100:101], v[74:75]
	v_fma_f64 v[126:127], v[220:221], v[100:101], -v[84:85]
	s_waitcnt vmcnt(3) lgkmcnt(4)
	v_mul_f64 v[36:37], v[240:241], v[142:143]
	v_fma_f64 v[100:101], v[38:39], v[96:97], v[94:95]
	s_waitcnt vmcnt(2)
	v_mul_f64 v[38:39], v[242:243], v[146:147]
	v_fma_f64 v[138:139], v[24:25], v[108:109], v[88:89]
	v_fma_f64 v[134:135], v[16:17], v[104:105], v[64:65]
	v_mul_f64 v[114:115], v[18:19], v[122:123]
	v_mul_f64 v[84:85], v[12:13], v[142:143]
	;; [unrolled: 1-line block ×3, first 2 shown]
	s_waitcnt vmcnt(1) lgkmcnt(3)
	v_mul_f64 v[146:147], v[52:53], v[150:151]
	s_waitcnt vmcnt(0)
	v_mul_f64 v[216:217], v[54:55], v[154:155]
	v_fma_f64 v[108:109], v[224:225], v[108:109], -v[90:91]
	v_fma_f64 v[106:107], v[26:27], v[112:113], v[46:47]
	v_fma_f64 v[80:81], v[226:227], v[112:113], -v[58:59]
	v_fma_f64 v[74:75], v[228:229], v[104:105], -v[102:103]
	v_fma_f64 v[122:123], v[18:19], v[120:121], v[110:111]
	v_fma_f64 v[110:111], v[20:21], v[124:125], v[40:41]
	;; [unrolled: 1-line block ×3, first 2 shown]
	v_add_f64 v[16:17], v[56:57], v[48:49]
	v_fma_f64 v[102:103], v[34:35], v[136:137], v[116:117]
	v_add_f64 v[18:19], v[252:253], v[44:45]
	v_add_f64 v[20:21], v[167:168], v[177:178]
	v_fma_f64 v[92:93], v[222:223], v[96:97], -v[98:99]
	v_fma_f64 v[116:117], v[12:13], v[140:141], v[36:37]
	v_add_f64 v[12:13], v[169:170], v[175:176]
	v_fma_f64 v[104:105], v[14:15], v[144:145], v[38:39]
	v_add_f64 v[14:15], v[130:131], v[138:139]
	v_add_f64 v[32:33], v[173:174], v[134:135]
	v_mul_f64 v[150:151], v[28:29], v[150:151]
	v_mul_f64 v[154:155], v[30:31], v[154:155]
	v_fma_f64 v[64:65], v[230:231], v[120:121], -v[114:115]
	v_fma_f64 v[98:99], v[22:23], v[128:129], v[42:43]
	v_fma_f64 v[88:89], v[234:235], v[128:129], -v[50:51]
	v_fma_f64 v[120:121], v[28:29], v[148:149], v[146:147]
	v_fma_f64 v[114:115], v[30:31], v[152:153], v[216:217]
	v_add_f64 v[22:23], v[8:9], v[252:253]
	v_add_f64 v[24:25], v[254:255], -v[212:213]
	v_add_f64 v[26:27], v[252:253], -v[56:57]
	;; [unrolled: 1-line block ×3, first 2 shown]
	v_add_f64 v[30:31], v[10:11], v[167:168]
	v_add_f64 v[34:35], v[244:245], -v[246:247]
	v_add_f64 v[36:37], v[4:5], v[173:174]
	v_fma_f64 v[16:17], v[16:17], -0.5, v[8:9]
	v_fma_f64 v[8:9], v[18:19], -0.5, v[8:9]
	v_add_f64 v[18:19], v[163:164], -v[158:159]
	v_add_f64 v[38:39], v[165:166], -v[171:172]
	v_fma_f64 v[12:13], v[12:13], -0.5, v[10:11]
	v_fma_f64 v[10:11], v[20:21], -0.5, v[10:11]
	;; [unrolled: 1-line block ×3, first 2 shown]
	v_add_f64 v[46:47], v[167:168], -v[169:170]
	v_add_f64 v[50:51], v[177:178], -v[175:176]
	v_add_f64 v[128:129], v[126:127], -v[108:109]
	v_fma_f64 v[4:5], v[32:33], -0.5, v[4:5]
	v_add_f64 v[40:41], v[156:157], -v[74:75]
	v_fma_f64 v[94:95], v[232:233], v[124:125], -v[76:77]
	v_fma_f64 v[96:97], v[236:237], v[132:133], -v[82:83]
	;; [unrolled: 1-line block ×7, first 2 shown]
	v_add_f64 v[20:21], v[56:57], -v[252:253]
	v_add_f64 v[42:43], v[48:49], -v[44:45]
	;; [unrolled: 1-line block ×4, first 2 shown]
	v_add_f64 v[22:23], v[22:23], v[56:57]
	v_add_f64 v[32:33], v[130:131], -v[173:174]
	v_fma_f64 v[132:133], v[24:25], s[4:5], v[16:17]
	v_fma_f64 v[136:137], v[34:35], s[12:13], v[8:9]
	;; [unrolled: 1-line block ×8, first 2 shown]
	v_add_f64 v[146:147], v[138:139], -v[134:135]
	v_add_f64 v[148:149], v[100:101], v[106:107]
	v_add_f64 v[26:27], v[26:27], v[28:29]
	v_add_f64 v[28:29], v[46:47], v[50:51]
	v_fma_f64 v[50:51], v[128:129], s[12:13], v[4:5]
	v_fma_f64 v[4:5], v[128:129], s[4:5], v[4:5]
	v_add_f64 v[30:31], v[30:31], v[169:170]
	v_add_f64 v[58:59], v[173:174], -v[130:131]
	v_add_f64 v[124:125], v[134:135], -v[138:139]
	v_add_f64 v[36:37], v[36:37], v[130:131]
	v_fma_f64 v[144:145], v[40:41], s[4:5], v[14:15]
	v_add_f64 v[20:21], v[20:21], v[42:43]
	v_add_f64 v[42:43], v[52:53], v[54:55]
	;; [unrolled: 1-line block ×3, first 2 shown]
	v_fma_f64 v[52:53], v[34:35], s[6:7], v[132:133]
	v_fma_f64 v[54:55], v[24:25], s[6:7], v[136:137]
	;; [unrolled: 1-line block ×8, first 2 shown]
	v_add_f64 v[38:39], v[86:87], -v[64:65]
	v_add_f64 v[132:133], v[112:113], v[116:117]
	v_add_f64 v[136:137], v[110:111], v[120:121]
	;; [unrolled: 1-line block ×3, first 2 shown]
	v_fma_f64 v[140:141], v[148:149], -0.5, v[6:7]
	v_fma_f64 v[50:51], v[40:41], s[6:7], v[50:51]
	v_fma_f64 v[4:5], v[40:41], s[14:15], v[4:5]
	v_add_f64 v[30:31], v[30:31], v[175:176]
	v_add_f64 v[46:47], v[58:59], v[124:125]
	;; [unrolled: 1-line block ×3, first 2 shown]
	v_fma_f64 v[18:19], v[128:129], s[6:7], v[144:145]
	v_add_f64 v[150:151], v[118:119], v[122:123]
	v_add_f64 v[58:59], v[92:93], -v[80:81]
	v_add_f64 v[124:125], v[118:119], -v[100:101]
	v_add_f64 v[22:23], v[22:23], v[44:45]
	v_fma_f64 v[52:53], v[26:27], s[10:11], v[52:53]
	v_fma_f64 v[54:55], v[20:21], s[10:11], v[54:55]
	;; [unrolled: 1-line block ×8, first 2 shown]
	v_add_f64 v[26:27], v[122:123], -v[106:107]
	v_add_f64 v[28:29], v[100:101], -v[118:119]
	;; [unrolled: 1-line block ×3, first 2 shown]
	v_add_f64 v[42:43], v[102:103], v[104:105]
	v_add_f64 v[144:145], v[94:95], -v[78:79]
	v_add_f64 v[146:147], v[98:99], v[114:115]
	v_add_f64 v[148:149], v[96:97], -v[84:85]
	v_fma_f64 v[14:15], v[40:41], s[12:13], v[14:15]
	v_fma_f64 v[40:41], v[38:39], s[4:5], v[140:141]
	v_fma_f64 v[132:133], v[132:133], -0.5, v[0:1]
	v_fma_f64 v[50:51], v[32:33], s[10:11], v[50:51]
	v_fma_f64 v[4:5], v[32:33], s[10:11], v[4:5]
	v_fma_f64 v[32:33], v[136:137], -0.5, v[0:1]
	v_add_f64 v[30:31], v[30:31], v[177:178]
	v_add_f64 v[36:37], v[36:37], v[134:135]
	v_fma_f64 v[18:19], v[46:47], s[10:11], v[18:19]
	v_fma_f64 v[142:143], v[150:151], -0.5, v[6:7]
	v_add_f64 v[6:7], v[6:7], v[118:119]
	s_waitcnt lgkmcnt(0)
	s_barrier
	buffer_gl0_inv
	ds_write2_b64 v211, v[22:23], v[52:53] offset1:3
	ds_write2_b64 v211, v[54:55], v[8:9] offset0:6 offset1:9
	ds_write_b64 v211, v[16:17] offset:96
	ds_write2_b64 v210, v[30:31], v[20:21] offset1:3
	ds_write2_b64 v210, v[24:25], v[10:11] offset0:6 offset1:9
	ds_write_b64 v210, v[12:13] offset:96
	ds_write2_b64 v209, v[36:37], v[18:19] offset1:3
	v_fma_f64 v[8:9], v[38:39], s[12:13], v[140:141]
	v_add_f64 v[10:11], v[124:125], v[26:27]
	v_fma_f64 v[12:13], v[42:43], -0.5, v[2:3]
	v_add_f64 v[16:17], v[88:89], -v[76:77]
	v_fma_f64 v[18:19], v[146:147], -0.5, v[2:3]
	v_add_f64 v[20:21], v[90:91], -v[82:83]
	v_fma_f64 v[22:23], v[58:59], s[6:7], v[40:41]
	v_add_f64 v[0:1], v[0:1], v[110:111]
	ds_write2_b64 v209, v[50:51], v[4:5] offset0:6 offset1:9
	v_add_f64 v[4:5], v[28:29], v[34:35]
	v_add_f64 v[24:25], v[110:111], -v[112:113]
	v_add_f64 v[26:27], v[120:121], -v[116:117]
	;; [unrolled: 1-line block ×4, first 2 shown]
	v_fma_f64 v[36:37], v[144:145], s[4:5], v[132:133]
	v_fma_f64 v[40:41], v[148:149], s[12:13], v[32:33]
	;; [unrolled: 1-line block ×4, first 2 shown]
	v_add_f64 v[2:3], v[2:3], v[98:99]
	v_add_f64 v[6:7], v[6:7], v[100:101]
	v_fma_f64 v[136:137], v[58:59], s[12:13], v[142:143]
	v_fma_f64 v[142:143], v[58:59], s[4:5], v[142:143]
	v_add_f64 v[28:29], v[244:245], v[246:247]
	v_fma_f64 v[14:15], v[128:129], s[14:15], v[14:15]
	v_add_f64 v[50:51], v[98:99], -v[102:103]
	v_add_f64 v[52:53], v[114:115], -v[104:105]
	;; [unrolled: 1-line block ×4, first 2 shown]
	v_fma_f64 v[128:129], v[16:17], s[4:5], v[12:13]
	v_fma_f64 v[132:133], v[20:21], s[12:13], v[18:19]
	;; [unrolled: 1-line block ×4, first 2 shown]
	v_add_f64 v[0:1], v[0:1], v[112:113]
	v_fma_f64 v[8:9], v[58:59], s[14:15], v[8:9]
	v_add_f64 v[24:25], v[24:25], v[26:27]
	v_add_f64 v[26:27], v[30:31], v[34:35]
	v_fma_f64 v[30:31], v[148:149], s[6:7], v[36:37]
	v_fma_f64 v[34:35], v[144:145], s[6:7], v[40:41]
	;; [unrolled: 1-line block ×4, first 2 shown]
	v_add_f64 v[42:43], v[254:255], v[212:213]
	v_add_f64 v[2:3], v[2:3], v[102:103]
	;; [unrolled: 1-line block ×3, first 2 shown]
	v_fma_f64 v[136:137], v[38:39], s[6:7], v[136:137]
	v_fma_f64 v[38:39], v[38:39], s[14:15], v[142:143]
	v_add_f64 v[44:45], v[252:253], -v[44:45]
	v_add_f64 v[140:141], v[70:71], v[254:255]
	v_fma_f64 v[28:29], v[28:29], -0.5, v[70:71]
	v_add_f64 v[40:41], v[50:51], v[52:53]
	v_add_f64 v[50:51], v[54:55], v[124:125]
	v_fma_f64 v[52:53], v[20:21], s[6:7], v[128:129]
	v_fma_f64 v[54:55], v[16:17], s[6:7], v[132:133]
	;; [unrolled: 1-line block ×4, first 2 shown]
	v_add_f64 v[0:1], v[0:1], v[116:117]
	v_add_f64 v[48:49], v[56:57], -v[48:49]
	v_fma_f64 v[14:15], v[46:47], s[10:11], v[14:15]
	v_fma_f64 v[22:23], v[10:11], s[10:11], v[22:23]
	;; [unrolled: 1-line block ×6, first 2 shown]
	v_fma_f64 v[32:33], v[42:43], -0.5, v[70:71]
	v_add_f64 v[2:3], v[2:3], v[104:105]
	v_add_f64 v[6:7], v[6:7], v[122:123]
	v_fma_f64 v[46:47], v[4:5], s[10:11], v[136:137]
	v_fma_f64 v[4:5], v[4:5], s[10:11], v[38:39]
	v_mul_u32_u24_e32 v38, 0x78, v203
	v_lshlrev_b32_sdwa v39, v199, v204 dst_sel:DWORD dst_unused:UNUSED_PAD src0_sel:DWORD src1_sel:WORD_0
	v_add_f64 v[18:19], v[254:255], -v[244:245]
	v_add_f64 v[20:21], v[212:213], -v[246:247]
	v_add_f64 v[56:57], v[140:141], v[244:245]
	v_fma_f64 v[58:59], v[44:45], s[12:13], v[28:29]
	v_fma_f64 v[24:25], v[24:25], s[10:11], v[36:37]
	;; [unrolled: 1-line block ×6, first 2 shown]
	v_add_f64 v[0:1], v[0:1], v[120:121]
	v_add3_u32 v160, 0, v38, v39
	ds_write_b64 v209, v[14:15] offset:96
	v_add_f64 v[14:15], v[244:245], -v[254:255]
	v_add_f64 v[38:39], v[246:247], -v[212:213]
	ds_write2_b64 v160, v[6:7], v[22:23] offset1:3
	ds_write2_b64 v160, v[46:47], v[4:5] offset0:6 offset1:9
	v_fma_f64 v[40:41], v[48:49], s[4:5], v[32:33]
	v_fma_f64 v[32:33], v[48:49], s[12:13], v[32:33]
	v_add_f64 v[2:3], v[2:3], v[114:115]
	v_fma_f64 v[4:5], v[44:45], s[4:5], v[28:29]
	v_mul_u32_u24_e32 v42, 0x78, v205
	v_lshlrev_b32_sdwa v43, v199, v208 dst_sel:DWORD dst_unused:UNUSED_PAD src0_sel:DWORD src1_sel:WORD_0
	v_mul_u32_u24_e32 v50, 0x78, v206
	v_lshlrev_b32_sdwa v51, v199, v207 dst_sel:DWORD dst_unused:UNUSED_PAD src0_sel:DWORD src1_sel:WORD_0
	v_add_f64 v[70:71], v[18:19], v[20:21]
	v_add_f64 v[18:19], v[56:57], v[246:247]
	v_add3_u32 v161, 0, v42, v43
	v_fma_f64 v[20:21], v[48:49], s[14:15], v[58:59]
	v_add3_u32 v162, 0, v50, v51
	ds_write_b64 v160, v[8:9] offset:96
	ds_write2_b64 v161, v[0:1], v[10:11] offset1:3
	v_add_f64 v[0:1], v[72:73], v[163:164]
	v_add_f64 v[6:7], v[165:166], v[171:172]
	;; [unrolled: 1-line block ×3, first 2 shown]
	ds_write2_b64 v161, v[30:31], v[26:27] offset0:6 offset1:9
	ds_write_b64 v161, v[24:25] offset:96
	ds_write2_b64 v162, v[2:3], v[34:35] offset1:3
	ds_write2_b64 v162, v[36:37], v[16:17] offset0:6 offset1:9
	ds_write_b64 v162, v[12:13] offset:96
	v_add_f64 v[12:13], v[14:15], v[38:39]
	v_fma_f64 v[14:15], v[44:45], s[14:15], v[40:41]
	v_fma_f64 v[16:17], v[44:45], s[6:7], v[32:33]
	;; [unrolled: 1-line block ×3, first 2 shown]
	v_add_f64 v[142:143], v[156:157], v[74:75]
	v_add_f64 v[144:145], v[167:168], -v[177:178]
	v_add_f64 v[146:147], v[169:170], -v[175:176]
	v_add_f64 v[124:125], v[18:19], v[212:213]
	v_add_f64 v[148:149], v[126:127], v[108:109]
	v_fma_f64 v[128:129], v[70:71], s[10:11], v[20:21]
	v_add_f64 v[167:168], v[66:67], v[156:157]
	s_waitcnt lgkmcnt(0)
	s_barrier
	v_add_f64 v[136:137], v[0:1], v[165:166]
	v_fma_f64 v[140:141], v[6:7], -0.5, v[72:73]
	v_fma_f64 v[72:73], v[22:23], -0.5, v[72:73]
	buffer_gl0_inv
	ds_read2_b64 v[8:11], v181 offset1:125
	ds_read2_b64 v[56:59], v190 offset0:110 offset1:235
	ds_read2_b64 v[52:55], v186 offset0:92 offset1:217
	ds_read2_b64 v[48:51], v184 offset0:74 offset1:199
	ds_read2_b64 v[44:47], v185 offset0:56 offset1:181
	ds_read2_b64 v[0:3], v187 offset0:122 offset1:247
	ds_read2_b64 v[32:35], v189 offset0:104 offset1:229
	ds_read2_b64 v[28:31], v197 offset0:86 offset1:211
	ds_read2_b64 v[40:43], v183 offset0:68 offset1:193
	ds_read2_b64 v[36:39], v191 offset0:50 offset1:175
	ds_read2_b64 v[4:7], v200 offset0:116 offset1:241
	v_add_f64 v[154:155], v[158:159], -v[171:172]
	v_fma_f64 v[150:151], v[12:13], s[10:11], v[14:15]
	v_fma_f64 v[152:153], v[12:13], s[10:11], v[16:17]
	;; [unrolled: 1-line block ×3, first 2 shown]
	v_add_f64 v[132:133], v[163:164], -v[165:166]
	v_add_f64 v[163:164], v[165:166], -v[163:164]
	;; [unrolled: 1-line block ×3, first 2 shown]
	ds_read2_b64 v[24:27], v193 offset0:98 offset1:223
	ds_read2_b64 v[20:23], v195 offset0:80 offset1:205
	;; [unrolled: 1-line block ×4, first 2 shown]
	s_waitcnt lgkmcnt(0)
	v_add_f64 v[130:131], v[130:131], -v[138:139]
	v_fma_f64 v[138:139], v[142:143], -0.5, v[66:67]
	s_barrier
	v_add_f64 v[136:137], v[136:137], v[171:172]
	v_add_f64 v[134:135], v[173:174], -v[134:135]
	v_fma_f64 v[169:170], v[146:147], s[4:5], v[72:73]
	v_fma_f64 v[66:67], v[148:149], -0.5, v[66:67]
	buffer_gl0_inv
	ds_write2_b64 v211, v[124:125], v[128:129] offset1:3
	ds_write2_b64 v211, v[150:151], v[152:153] offset0:6 offset1:9
	v_add_f64 v[124:125], v[92:93], v[80:81]
	v_fma_f64 v[72:73], v[146:147], s[12:13], v[72:73]
	v_fma_f64 v[128:129], v[144:145], s[4:5], v[140:141]
	;; [unrolled: 1-line block ×3, first 2 shown]
	ds_write_b64 v211, v[70:71] offset:96
	v_add_f64 v[70:71], v[156:157], -v[126:127]
	v_add_f64 v[140:141], v[74:75], -v[108:109]
	v_add_f64 v[152:153], v[86:87], v[64:65]
	v_add_f64 v[148:149], v[163:164], v[165:166]
	v_add_f64 v[150:151], v[167:168], v[126:127]
	v_add_f64 v[163:164], v[96:97], v[84:85]
	v_add_f64 v[167:168], v[94:95], v[78:79]
	v_add_f64 v[132:133], v[132:133], v[154:155]
	v_add_f64 v[136:137], v[136:137], v[158:159]
	v_add_f64 v[126:127], v[126:127], -v[156:157]
	v_add_f64 v[154:155], v[108:109], -v[74:75]
	v_fma_f64 v[156:157], v[130:131], s[4:5], v[138:139]
	v_fma_f64 v[158:159], v[144:145], s[14:15], v[169:170]
	;; [unrolled: 1-line block ×5, first 2 shown]
	v_add_f64 v[118:119], v[118:119], -v[122:123]
	v_fma_f64 v[122:123], v[124:125], -0.5, v[68:69]
	v_fma_f64 v[72:73], v[144:145], s[6:7], v[72:73]
	v_fma_f64 v[124:125], v[146:147], s[6:7], v[128:129]
	v_add_f64 v[128:129], v[90:91], v[82:83]
	v_add_f64 v[144:145], v[88:89], v[76:77]
	v_add_f64 v[100:101], v[100:101], -v[106:107]
	v_add_f64 v[70:71], v[70:71], v[140:141]
	v_add_f64 v[140:141], v[68:69], v[86:87]
	v_fma_f64 v[68:69], v[152:153], -0.5, v[68:69]
	v_fma_f64 v[142:143], v[146:147], s[14:15], v[142:143]
	v_add_f64 v[146:147], v[86:87], -v[92:93]
	v_add_f64 v[169:170], v[64:65], -v[80:81]
	v_add_f64 v[108:109], v[150:151], v[108:109]
	v_add_f64 v[150:151], v[60:61], v[94:95]
	v_add_f64 v[110:111], v[110:111], -v[120:121]
	v_fma_f64 v[120:121], v[163:164], -0.5, v[60:61]
	v_add_f64 v[112:113], v[112:113], -v[116:117]
	v_fma_f64 v[60:61], v[167:168], -0.5, v[60:61]
	v_add_f64 v[106:107], v[126:127], v[154:155]
	v_fma_f64 v[126:127], v[134:135], s[14:15], v[156:157]
	v_fma_f64 v[134:135], v[134:135], s[6:7], v[138:139]
	;; [unrolled: 1-line block ×4, first 2 shown]
	v_add_f64 v[130:131], v[62:63], v[88:89]
	v_add_f64 v[102:103], v[102:103], -v[104:105]
	v_fma_f64 v[128:129], v[128:129], -0.5, v[62:63]
	v_fma_f64 v[62:63], v[144:145], -0.5, v[62:63]
	v_add_f64 v[98:99], v[98:99], -v[114:115]
	v_fma_f64 v[116:117], v[118:119], s[12:13], v[122:123]
	v_fma_f64 v[122:123], v[118:119], s[4:5], v[122:123]
	v_add_f64 v[104:105], v[140:141], v[92:93]
	v_add_f64 v[86:87], v[92:93], -v[86:87]
	v_add_f64 v[92:93], v[80:81], -v[64:65]
	v_fma_f64 v[140:141], v[100:101], s[4:5], v[68:69]
	v_fma_f64 v[68:69], v[100:101], s[12:13], v[68:69]
	v_add_f64 v[114:115], v[146:147], v[169:170]
	v_add_f64 v[144:145], v[94:95], -v[96:97]
	v_add_f64 v[146:147], v[150:151], v[96:97]
	v_add_f64 v[150:151], v[78:79], -v[84:85]
	v_fma_f64 v[152:153], v[110:111], s[12:13], v[120:121]
	v_add_f64 v[94:95], v[96:97], -v[94:95]
	v_add_f64 v[96:97], v[84:85], -v[78:79]
	v_fma_f64 v[154:155], v[112:113], s[4:5], v[60:61]
	v_fma_f64 v[60:61], v[112:113], s[12:13], v[60:61]
	;; [unrolled: 1-line block ×3, first 2 shown]
	v_add_f64 v[156:157], v[88:89], -v[90:91]
	v_add_f64 v[163:164], v[76:77], -v[82:83]
	v_add_f64 v[130:131], v[130:131], v[90:91]
	v_add_f64 v[88:89], v[90:91], -v[88:89]
	v_add_f64 v[90:91], v[82:83], -v[76:77]
	v_fma_f64 v[165:166], v[102:103], s[4:5], v[62:63]
	v_fma_f64 v[167:168], v[98:99], s[12:13], v[128:129]
	;; [unrolled: 1-line block ×6, first 2 shown]
	v_add_f64 v[80:81], v[104:105], v[80:81]
	v_add_f64 v[86:87], v[86:87], v[92:93]
	v_fma_f64 v[92:93], v[118:119], s[14:15], v[140:141]
	v_fma_f64 v[68:69], v[118:119], s[6:7], v[68:69]
	v_add_f64 v[104:105], v[144:145], v[150:151]
	v_fma_f64 v[118:119], v[112:113], s[14:15], v[152:153]
	v_add_f64 v[84:85], v[146:147], v[84:85]
	v_add_f64 v[94:95], v[94:95], v[96:97]
	v_fma_f64 v[128:129], v[110:111], s[14:15], v[154:155]
	v_fma_f64 v[60:61], v[110:111], s[6:7], v[60:61]
	;; [unrolled: 1-line block ×4, first 2 shown]
	v_add_f64 v[110:111], v[156:157], v[163:164]
	v_add_f64 v[82:83], v[130:131], v[82:83]
	v_fma_f64 v[120:121], v[148:149], s[10:11], v[158:159]
	v_add_f64 v[88:89], v[88:89], v[90:91]
	v_fma_f64 v[90:91], v[98:99], s[14:15], v[165:166]
	v_fma_f64 v[130:131], v[102:103], s[14:15], v[167:168]
	;; [unrolled: 1-line block ×6, first 2 shown]
	v_add_f64 v[74:75], v[108:109], v[74:75]
	v_fma_f64 v[108:109], v[70:71], s[10:11], v[138:139]
	v_fma_f64 v[122:123], v[106:107], s[10:11], v[126:127]
	;; [unrolled: 1-line block ×4, first 2 shown]
	v_add_f64 v[64:65], v[80:81], v[64:65]
	v_fma_f64 v[70:71], v[114:115], s[10:11], v[116:117]
	v_fma_f64 v[92:93], v[86:87], s[10:11], v[92:93]
	;; [unrolled: 1-line block ×4, first 2 shown]
	v_add_f64 v[78:79], v[84:85], v[78:79]
	v_fma_f64 v[84:85], v[104:105], s[10:11], v[118:119]
	v_and_b32_e32 v243, 0xff, v180
	v_fma_f64 v[100:101], v[94:95], s[10:11], v[128:129]
	v_fma_f64 v[60:61], v[94:95], s[10:11], v[60:61]
	;; [unrolled: 1-line block ×3, first 2 shown]
	v_add_f64 v[76:77], v[82:83], v[76:77]
	v_fma_f64 v[82:83], v[88:89], s[10:11], v[90:91]
	v_fma_f64 v[90:91], v[110:111], s[10:11], v[130:131]
	v_mul_lo_u16 v94, 0x89, v202
	ds_write2_b64 v210, v[136:137], v[96:97] offset1:3
	ds_write2_b64 v210, v[120:121], v[72:73] offset0:6 offset1:9
	ds_write_b64 v210, v[98:99] offset:96
	v_mul_lo_u16 v72, 0x89, v243
	v_fma_f64 v[62:63], v[88:89], s[10:11], v[62:63]
	v_fma_f64 v[88:89], v[110:111], s[10:11], v[102:103]
	v_lshrrev_b16 v169, 11, v94
	ds_write2_b64 v209, v[74:75], v[108:109] offset1:3
	ds_write2_b64 v209, v[122:123], v[106:107] offset0:6 offset1:9
	ds_write_b64 v209, v[66:67] offset:96
	v_lshrrev_b16 v172, 11, v72
	ds_write2_b64 v160, v[64:65], v[70:71] offset1:3
	ds_write2_b64 v160, v[92:93], v[68:69] offset0:6 offset1:9
	ds_write_b64 v160, v[80:81] offset:96
	ds_write2_b64 v161, v[78:79], v[84:85] offset1:3
	v_mul_lo_u16 v66, v169, 15
	v_mul_lo_u16 v64, v172, 15
	ds_write2_b64 v161, v[100:101], v[60:61] offset0:6 offset1:9
	ds_write_b64 v161, v[86:87] offset:96
	ds_write2_b64 v162, v[76:77], v[90:91] offset1:3
	v_sub_nc_u16 v174, v179, v66
	v_sub_nc_u16 v165, v180, v64
	v_mov_b32_e32 v72, 0x8889
	v_mov_b32_e32 v242, v182
	;; [unrolled: 1-line block ×3, first 2 shown]
	v_lshlrev_b32_sdwa v60, v201, v174 dst_sel:DWORD dst_unused:UNUSED_PAD src0_sel:DWORD src1_sel:BYTE_0
	v_lshlrev_b32_sdwa v61, v201, v165 dst_sel:DWORD dst_unused:UNUSED_PAD src0_sel:DWORD src1_sel:BYTE_0
	ds_write2_b64 v162, v[82:83], v[62:63] offset0:6 offset1:9
	ds_write_b64 v162, v[88:89] offset:96
	s_waitcnt lgkmcnt(0)
	s_barrier
	buffer_gl0_inv
	s_clause 0x3
	global_load_dwordx4 v[128:131], v60, s[8:9] offset:192
	global_load_dwordx4 v[132:135], v61, s[8:9] offset:192
	;; [unrolled: 1-line block ×4, first 2 shown]
	v_mul_u32_u24_sdwa v62, v188, v72 dst_sel:DWORD dst_unused:UNUSED_PAD src0_sel:WORD_0 src1_sel:DWORD
	s_clause 0x1
	global_load_dwordx4 v[152:155], v60, s[8:9] offset:240
	global_load_dwordx4 v[156:159], v61, s[8:9] offset:208
	v_mul_u32_u24_sdwa v60, v242, v72 dst_sel:DWORD dst_unused:UNUSED_PAD src0_sel:WORD_0 src1_sel:DWORD
	s_clause 0x1
	global_load_dwordx4 v[175:178], v61, s[8:9] offset:224
	global_load_dwordx4 v[68:71], v61, s[8:9] offset:240
	v_lshrrev_b32_e32 v166, 19, v62
	v_mul_u32_u24_sdwa v75, v196, v72 dst_sel:DWORD dst_unused:UNUSED_PAD src0_sel:WORD_0 src1_sel:DWORD
	v_lshrrev_b32_e32 v163, 19, v60
	v_mul_u32_u24_sdwa v72, v198, v72 dst_sel:DWORD dst_unused:UNUSED_PAD src0_sel:WORD_0 src1_sel:DWORD
	v_lshlrev_b32_sdwa v160, v199, v165 dst_sel:DWORD dst_unused:UNUSED_PAD src0_sel:DWORD src1_sel:BYTE_0
	v_mul_lo_u16 v62, v166, 15
	v_lshrrev_b32_e32 v167, 19, v75
	v_mul_lo_u16 v60, v163, 15
	v_lshrrev_b32_e32 v168, 19, v72
	v_mov_b32_e32 v182, v191
	v_sub_nc_u16 v173, v188, v62
	v_mov_b32_e32 v255, v198
	v_sub_nc_u16 v164, v242, v60
	v_mul_lo_u16 v72, v168, 15
	v_lshlrev_b32_sdwa v73, v201, v173 dst_sel:DWORD dst_unused:UNUSED_PAD src0_sel:DWORD src1_sel:WORD_0
	v_lshlrev_b32_sdwa v74, v201, v164 dst_sel:DWORD dst_unused:UNUSED_PAD src0_sel:DWORD src1_sel:WORD_0
	v_sub_nc_u16 v171, v198, v72
	s_clause 0x6
	global_load_dwordx4 v[64:67], v73, s[8:9] offset:192
	global_load_dwordx4 v[60:63], v74, s[8:9] offset:192
	;; [unrolled: 1-line block ×7, first 2 shown]
	v_mul_lo_u16 v73, v167, 15
	global_load_dwordx4 v[116:119], v74, s[8:9] offset:240
	v_lshlrev_b32_sdwa v72, v201, v171 dst_sel:DWORD dst_unused:UNUSED_PAD src0_sel:DWORD src1_sel:WORD_0
	v_sub_nc_u16 v170, v196, v73
	v_mov_b32_e32 v196, v180
	v_mov_b32_e32 v180, v183
	v_lshlrev_b32_sdwa v73, v201, v170 dst_sel:DWORD dst_unused:UNUSED_PAD src0_sel:DWORD src1_sel:WORD_0
	s_clause 0x7
	global_load_dwordx4 v[108:111], v73, s[8:9] offset:192
	global_load_dwordx4 v[112:115], v72, s[8:9] offset:192
	;; [unrolled: 1-line block ×8, first 2 shown]
	ds_read2_b64 v[201:204], v190 offset0:110 offset1:235
	ds_read2_b64 v[205:208], v186 offset0:92 offset1:217
	;; [unrolled: 1-line block ×6, first 2 shown]
	s_waitcnt vmcnt(23) lgkmcnt(5)
	v_mul_f64 v[136:137], v[201:202], v[130:131]
	v_mul_f64 v[130:131], v[56:57], v[130:131]
	s_waitcnt vmcnt(22)
	v_mul_f64 v[138:139], v[203:204], v[134:135]
	s_waitcnt vmcnt(20) lgkmcnt(3)
	v_mul_f64 v[225:226], v[209:210], v[150:151]
	v_mul_f64 v[142:143], v[205:206], v[146:147]
	;; [unrolled: 1-line block ×3, first 2 shown]
	s_waitcnt vmcnt(19) lgkmcnt(2)
	v_mul_f64 v[231:232], v[213:214], v[154:155]
	v_mul_f64 v[146:147], v[52:53], v[146:147]
	s_waitcnt vmcnt(18)
	v_mul_f64 v[233:234], v[207:208], v[158:159]
	v_mul_f64 v[150:151], v[48:49], v[150:151]
	s_waitcnt vmcnt(17)
	;; [unrolled: 3-line block ×3, first 2 shown]
	v_mul_f64 v[237:238], v[46:47], v[70:71]
	v_mul_f64 v[158:159], v[54:55], v[158:159]
	;; [unrolled: 1-line block ×3, first 2 shown]
	v_fma_f64 v[140:141], v[56:57], v[128:129], v[136:137]
	v_fma_f64 v[134:135], v[201:202], v[128:129], -v[130:131]
	v_fma_f64 v[128:129], v[58:59], v[132:133], v[138:139]
	v_fma_f64 v[138:139], v[48:49], v[148:149], v[225:226]
	v_mul_f64 v[48:49], v[215:216], v[70:71]
	ds_read2_b64 v[225:228], v183 offset0:68 offset1:193
	v_fma_f64 v[136:137], v[52:53], v[144:145], v[142:143]
	v_fma_f64 v[70:71], v[203:204], v[132:133], -v[229:230]
	s_waitcnt vmcnt(15) lgkmcnt(2)
	v_mul_f64 v[229:230], v[217:218], v[66:67]
	v_mul_f64 v[239:240], v[32:33], v[66:67]
	v_fma_f64 v[142:143], v[44:45], v[152:153], v[231:232]
	v_fma_f64 v[66:67], v[205:206], v[144:145], -v[146:147]
	ds_read2_b64 v[201:204], v191 offset0:50 offset1:175
	s_waitcnt vmcnt(14)
	v_mul_f64 v[144:145], v[219:220], v[62:63]
	v_fma_f64 v[56:57], v[54:55], v[156:157], v[233:234]
	v_fma_f64 v[54:55], v[209:210], v[148:149], -v[150:151]
	v_fma_f64 v[58:59], v[50:51], v[175:176], v[235:236]
	v_fma_f64 v[132:133], v[211:212], v[175:176], -v[177:178]
	v_mul_f64 v[50:51], v[34:35], v[62:63]
	s_waitcnt vmcnt(13) lgkmcnt(2)
	v_mul_f64 v[62:63], v[221:222], v[82:83]
	v_mul_f64 v[150:151], v[28:29], v[82:83]
	v_fma_f64 v[148:149], v[215:216], v[68:69], -v[237:238]
	v_fma_f64 v[130:131], v[207:208], v[156:157], -v[158:159]
	s_waitcnt vmcnt(12)
	v_mul_f64 v[156:157], v[223:224], v[86:87]
	v_fma_f64 v[52:53], v[213:214], v[152:153], -v[154:155]
	s_waitcnt vmcnt(11) lgkmcnt(1)
	v_mul_f64 v[175:176], v[225:226], v[78:79]
	v_fma_f64 v[82:83], v[46:47], v[68:69], v[48:49]
	v_mul_f64 v[68:69], v[40:41], v[78:79]
	s_waitcnt vmcnt(10)
	v_mul_f64 v[78:79], v[227:228], v[98:99]
	ds_read2_b64 v[44:47], v193 offset0:98 offset1:223
	v_mul_f64 v[158:159], v[30:31], v[86:87]
	v_add_f64 v[48:49], v[136:137], v[138:139]
	v_fma_f64 v[152:153], v[32:33], v[64:65], v[229:230]
	v_fma_f64 v[146:147], v[217:218], v[64:65], -v[239:240]
	v_add_f64 v[64:65], v[140:141], v[142:143]
	s_waitcnt vmcnt(8) lgkmcnt(1)
	v_mul_f64 v[209:210], v[203:204], v[118:119]
	v_mul_f64 v[211:212], v[38:39], v[118:119]
	v_fma_f64 v[144:145], v[34:35], v[60:61], v[144:145]
	ds_read2_b64 v[32:35], v192 offset0:62 offset1:187
	v_mul_f64 v[177:178], v[42:43], v[98:99]
	v_mul_f64 v[205:206], v[201:202], v[94:95]
	;; [unrolled: 1-line block ×3, first 2 shown]
	v_fma_f64 v[154:155], v[28:29], v[80:81], v[62:63]
	s_waitcnt vmcnt(7)
	v_mul_f64 v[62:63], v[24:25], v[110:111]
	v_fma_f64 v[86:87], v[219:220], v[60:61], -v[50:51]
	v_fma_f64 v[94:95], v[30:31], v[84:85], v[156:157]
	ds_read2_b64 v[28:31], v195 offset0:80 offset1:205
	v_fma_f64 v[150:151], v[221:222], v[80:81], -v[150:151]
	v_fma_f64 v[156:157], v[40:41], v[76:77], v[175:176]
	v_add_f64 v[40:41], v[8:9], v[140:141]
	v_fma_f64 v[98:99], v[42:43], v[96:97], v[78:79]
	s_waitcnt lgkmcnt(2)
	v_mul_f64 v[42:43], v[44:45], v[110:111]
	v_fma_f64 v[80:81], v[223:224], v[84:85], -v[158:159]
	v_fma_f64 v[48:49], v[48:49], -0.5, v[8:9]
	v_fma_f64 v[84:85], v[225:226], v[76:77], -v[68:69]
	v_add_f64 v[60:61], v[66:67], -v[54:55]
	v_fma_f64 v[8:9], v[64:65], -0.5, v[8:9]
	v_fma_f64 v[118:119], v[38:39], v[116:117], v[209:210]
	v_fma_f64 v[68:69], v[203:204], v[116:117], -v[211:212]
	s_waitcnt vmcnt(6)
	v_mul_f64 v[64:65], v[46:47], v[114:115]
	s_waitcnt vmcnt(5)
	v_mul_f64 v[116:117], v[20:21], v[122:123]
	s_waitcnt vmcnt(3) lgkmcnt(1)
	v_mul_f64 v[203:204], v[32:33], v[102:103]
	v_add_f64 v[50:51], v[134:135], -v[52:53]
	v_fma_f64 v[78:79], v[227:228], v[96:97], -v[177:178]
	v_fma_f64 v[158:159], v[36:37], v[92:93], v[205:206]
	v_fma_f64 v[76:77], v[201:202], v[92:93], -v[207:208]
	v_mul_f64 v[92:93], v[26:27], v[114:115]
	s_waitcnt lgkmcnt(0)
	v_mul_f64 v[96:97], v[28:29], v[122:123]
	ds_read2_b64 v[36:39], v194 offset0:44 offset1:169
	v_mul_f64 v[122:123], v[30:31], v[126:127]
	v_mul_f64 v[126:127], v[22:23], v[126:127]
	v_add_f64 v[40:41], v[40:41], v[136:137]
	v_add_f64 v[175:176], v[140:141], -v[136:137]
	v_fma_f64 v[110:111], v[24:25], v[108:109], v[42:43]
	v_mul_f64 v[24:25], v[16:17], v[102:103]
	v_add_f64 v[42:43], v[56:57], v[58:59]
	v_fma_f64 v[102:103], v[44:45], v[108:109], -v[62:63]
	s_waitcnt vmcnt(2)
	v_mul_f64 v[44:45], v[34:35], v[106:107]
	v_add_f64 v[62:63], v[128:129], v[82:83]
	v_fma_f64 v[209:210], v[60:61], s[12:13], v[8:9]
	v_fma_f64 v[8:9], v[60:61], s[4:5], v[8:9]
	;; [unrolled: 1-line block ×3, first 2 shown]
	v_mul_f64 v[26:27], v[18:19], v[106:107]
	v_fma_f64 v[106:107], v[28:29], v[120:121], -v[116:117]
	v_fma_f64 v[116:117], v[16:17], v[100:101], v[203:204]
	v_add_f64 v[16:17], v[154:155], v[156:157]
	v_add_f64 v[177:178], v[142:143], -v[138:139]
	v_fma_f64 v[201:202], v[50:51], s[4:5], v[48:49]
	v_fma_f64 v[92:93], v[46:47], v[112:113], -v[92:93]
	v_fma_f64 v[114:115], v[20:21], v[120:121], v[96:97]
	s_waitcnt vmcnt(1) lgkmcnt(0)
	v_mul_f64 v[46:47], v[36:37], v[90:91]
	v_fma_f64 v[48:49], v[50:51], s[12:13], v[48:49]
	v_add_f64 v[205:206], v[136:137], -v[140:141]
	v_add_f64 v[207:208], v[138:139], -v[142:143]
	v_add_f64 v[20:21], v[40:41], v[138:139]
	v_add_f64 v[64:65], v[146:147], -v[76:77]
	v_fma_f64 v[100:101], v[32:33], v[100:101], -v[24:25]
	v_fma_f64 v[24:25], v[42:43], -0.5, v[10:11]
	v_add_f64 v[32:33], v[70:71], -v[148:149]
	v_fma_f64 v[120:121], v[18:19], v[104:105], v[44:45]
	v_fma_f64 v[18:19], v[62:63], -0.5, v[10:11]
	v_add_f64 v[42:43], v[130:131], -v[132:133]
	v_mul_f64 v[44:45], v[12:13], v[90:91]
	v_add_f64 v[10:11], v[10:11], v[128:129]
	v_fma_f64 v[40:41], v[50:51], s[6:7], v[209:210]
	v_fma_f64 v[8:9], v[50:51], s[14:15], v[8:9]
	v_add_f64 v[50:51], v[152:153], v[158:159]
	v_add_f64 v[62:63], v[0:1], v[152:153]
	v_fma_f64 v[16:17], v[16:17], -0.5, v[0:1]
	v_fma_f64 v[112:113], v[22:23], v[124:125], v[122:123]
	v_fma_f64 v[96:97], v[30:31], v[124:125], -v[126:127]
	v_add_f64 v[22:23], v[175:176], v[177:178]
	v_fma_f64 v[28:29], v[60:61], s[6:7], v[201:202]
	v_fma_f64 v[90:91], v[34:35], v[104:105], -v[26:27]
	s_waitcnt vmcnt(0)
	v_mul_f64 v[26:27], v[38:39], v[74:75]
	v_mul_f64 v[34:35], v[14:15], v[74:75]
	v_fma_f64 v[104:105], v[12:13], v[88:89], v[46:47]
	v_fma_f64 v[12:13], v[60:61], s[14:15], v[48:49]
	v_add_f64 v[48:49], v[128:129], -v[56:57]
	v_add_f64 v[60:61], v[82:83], -v[58:59]
	v_fma_f64 v[123:124], v[32:33], s[4:5], v[24:25]
	v_fma_f64 v[24:25], v[32:33], s[12:13], v[24:25]
	v_add_f64 v[30:31], v[205:206], v[207:208]
	v_fma_f64 v[177:178], v[42:43], s[12:13], v[18:19]
	v_fma_f64 v[74:75], v[36:37], v[88:89], -v[44:45]
	v_fma_f64 v[18:19], v[42:43], s[4:5], v[18:19]
	v_add_f64 v[36:37], v[10:11], v[56:57]
	v_add_f64 v[125:126], v[56:57], -v[128:129]
	v_add_f64 v[175:176], v[58:59], -v[82:83]
	v_add_f64 v[201:202], v[150:151], -v[84:85]
	v_fma_f64 v[0:1], v[50:51], -0.5, v[0:1]
	v_add_f64 v[203:204], v[152:153], -v[154:155]
	v_add_f64 v[205:206], v[158:159], -v[156:157]
	v_add_f64 v[62:63], v[62:63], v[154:155]
	v_fma_f64 v[207:208], v[64:65], s[4:5], v[16:17]
	v_add_f64 v[20:21], v[20:21], v[142:143]
	v_fma_f64 v[28:29], v[22:23], s[10:11], v[28:29]
	v_fma_f64 v[88:89], v[14:15], v[72:73], v[26:27]
	v_fma_f64 v[72:73], v[38:39], v[72:73], -v[34:35]
	v_fma_f64 v[12:13], v[22:23], s[10:11], v[12:13]
	v_add_f64 v[38:39], v[94:95], v[98:99]
	v_add_f64 v[14:15], v[48:49], v[60:61]
	v_fma_f64 v[22:23], v[42:43], s[6:7], v[123:124]
	v_fma_f64 v[24:25], v[42:43], s[14:15], v[24:25]
	;; [unrolled: 1-line block ×6, first 2 shown]
	v_add_f64 v[32:33], v[36:37], v[58:59]
	v_mov_b32_e32 v127, 0x258
	v_lshlrev_b32_sdwa v9, v199, v174 dst_sel:DWORD dst_unused:UNUSED_PAD src0_sel:DWORD src1_sel:BYTE_0
	v_add_f64 v[26:27], v[125:126], v[175:176]
	v_add_f64 v[36:37], v[154:155], -v[152:153]
	v_add_f64 v[42:43], v[156:157], -v[158:159]
	v_mul_u32_u24_sdwa v8, v169, v127 dst_sel:DWORD dst_unused:UNUSED_PAD src0_sel:WORD_0 src1_sel:DWORD
	v_fma_f64 v[60:61], v[201:202], s[12:13], v[0:1]
	v_add_f64 v[125:126], v[203:204], v[205:206]
	v_add_f64 v[62:63], v[62:63], v[156:157]
	v_fma_f64 v[123:124], v[201:202], s[6:7], v[207:208]
	v_add3_u32 v122, 0, v8, v9
	v_add_f64 v[174:175], v[144:145], v[118:119]
	ds_read2_b64 v[8:11], v181 offset1:125
	ds_read2_b64 v[44:47], v187 offset0:122 offset1:247
	ds_read2_b64 v[48:51], v200 offset0:116 offset1:241
	s_waitcnt lgkmcnt(0)
	s_barrier
	v_fma_f64 v[0:1], v[201:202], s[4:5], v[0:1]
	buffer_gl0_inv
	ds_write2_b64 v122, v[20:21], v[28:29] offset1:15
	ds_write2_b64 v122, v[40:41], v[30:31] offset0:30 offset1:45
	ds_write_b64 v122, v[12:13] offset:480
	v_fma_f64 v[12:13], v[14:15], s[10:11], v[22:23]
	v_fma_f64 v[22:23], v[38:39], -0.5, v[2:3]
	v_add_f64 v[28:29], v[86:87], -v[68:69]
	v_fma_f64 v[14:15], v[14:15], s[10:11], v[24:25]
	v_add_f64 v[24:25], v[32:33], v[82:83]
	v_fma_f64 v[16:17], v[64:65], s[12:13], v[16:17]
	v_add_f64 v[32:33], v[110:111], v[104:105]
	v_mul_u32_u24_sdwa v127, v172, v127 dst_sel:DWORD dst_unused:UNUSED_PAD src0_sel:WORD_0 src1_sel:DWORD
	v_fma_f64 v[20:21], v[26:27], s[10:11], v[34:35]
	v_fma_f64 v[18:19], v[26:27], s[10:11], v[18:19]
	v_add_f64 v[26:27], v[36:37], v[42:43]
	v_fma_f64 v[30:31], v[64:65], s[6:7], v[60:61]
	v_add_f64 v[34:35], v[62:63], v[158:159]
	;; [unrolled: 2-line block ×3, first 2 shown]
	v_fma_f64 v[40:41], v[174:175], -0.5, v[2:3]
	v_add_f64 v[42:43], v[80:81], -v[78:79]
	v_add3_u32 v123, 0, v127, v160
	v_add_f64 v[62:63], v[112:113], v[120:121]
	v_fma_f64 v[0:1], v[64:65], s[14:15], v[0:1]
	v_add_f64 v[60:61], v[108:109], v[88:89]
	v_mul_u32_u24_e32 v124, 0x258, v166
	v_lshlrev_b32_sdwa v127, v199, v173 dst_sel:DWORD dst_unused:UNUSED_PAD src0_sel:DWORD src1_sel:WORD_0
	v_add_f64 v[64:65], v[144:145], -v[94:95]
	v_add_f64 v[165:166], v[118:119], -v[98:99]
	v_fma_f64 v[172:173], v[28:29], s[4:5], v[22:23]
	v_add_f64 v[174:175], v[94:95], -v[144:145]
	v_add_f64 v[176:177], v[98:99], -v[118:119]
	ds_write2_b64 v123, v[24:25], v[12:13] offset1:15
	v_fma_f64 v[12:13], v[201:202], s[14:15], v[16:17]
	v_add_f64 v[16:17], v[106:107], -v[100:101]
	v_fma_f64 v[24:25], v[32:33], -0.5, v[4:5]
	v_add3_u32 v124, 0, v124, v127
	ds_write2_b64 v123, v[20:21], v[18:19] offset0:30 offset1:45
	ds_write_b64 v123, v[14:15] offset:480
	ds_write2_b64 v124, v[34:35], v[36:37] offset1:15
	v_fma_f64 v[14:15], v[38:39], -0.5, v[4:5]
	v_fma_f64 v[20:21], v[26:27], s[10:11], v[30:31]
	v_fma_f64 v[30:31], v[42:43], s[12:13], v[40:41]
	;; [unrolled: 1-line block ×3, first 2 shown]
	v_fma_f64 v[38:39], v[62:63], -0.5, v[6:7]
	v_add_f64 v[40:41], v[92:93], -v[72:73]
	v_add_f64 v[2:3], v[2:3], v[144:145]
	v_add_f64 v[18:19], v[102:103], -v[74:75]
	v_fma_f64 v[32:33], v[60:61], -0.5, v[6:7]
	v_fma_f64 v[22:23], v[28:29], s[12:13], v[22:23]
	v_add_f64 v[60:61], v[64:65], v[165:166]
	v_fma_f64 v[62:63], v[42:43], s[6:7], v[172:173]
	v_add_f64 v[4:5], v[4:5], v[110:111]
	v_add_f64 v[64:65], v[174:175], v[176:177]
	v_add_f64 v[165:166], v[114:115], -v[110:111]
	v_add_f64 v[172:173], v[116:117], -v[104:105]
	;; [unrolled: 1-line block ×3, first 2 shown]
	v_fma_f64 v[174:175], v[16:17], s[12:13], v[24:25]
	v_add_f64 v[6:7], v[6:7], v[108:109]
	v_fma_f64 v[24:25], v[16:17], s[4:5], v[24:25]
	v_add_f64 v[201:202], v[110:111], -v[114:115]
	v_add_f64 v[203:204], v[104:105], -v[116:117]
	v_add_f64 v[176:177], v[66:67], v[54:55]
	v_add_f64 v[207:208], v[112:113], -v[108:109]
	v_add_f64 v[209:210], v[120:121], -v[88:89]
	v_add_f64 v[213:214], v[108:109], -v[112:113]
	v_add_f64 v[215:216], v[88:89], -v[120:121]
	v_fma_f64 v[217:218], v[40:41], s[4:5], v[38:39]
	v_fma_f64 v[38:39], v[40:41], s[12:13], v[38:39]
	v_add_f64 v[2:3], v[2:3], v[94:95]
	v_fma_f64 v[205:206], v[18:19], s[4:5], v[14:15]
	v_fma_f64 v[22:23], v[42:43], s[14:15], v[22:23]
	v_add_f64 v[42:43], v[140:141], -v[142:143]
	v_fma_f64 v[14:15], v[18:19], s[12:13], v[14:15]
	v_add_f64 v[4:5], v[4:5], v[114:115]
	v_fma_f64 v[30:31], v[28:29], s[6:7], v[30:31]
	v_fma_f64 v[28:29], v[28:29], s[14:15], v[36:37]
	v_add_f64 v[142:143], v[165:166], v[172:173]
	v_fma_f64 v[211:212], v[34:35], s[12:13], v[32:33]
	;; [unrolled: 3-line block ×3, first 2 shown]
	v_add_f64 v[6:7], v[6:7], v[112:113]
	v_add_f64 v[36:37], v[8:9], v[134:135]
	v_fma_f64 v[18:19], v[18:19], s[14:15], v[24:25]
	v_add_f64 v[24:25], v[201:202], v[203:204]
	v_add_f64 v[203:204], v[52:53], -v[54:55]
	v_fma_f64 v[140:141], v[176:177], -0.5, v[8:9]
	v_fma_f64 v[0:1], v[26:27], s[10:11], v[0:1]
	v_fma_f64 v[201:202], v[34:35], s[6:7], v[217:218]
	;; [unrolled: 1-line block ×3, first 2 shown]
	v_add_f64 v[38:39], v[134:135], -v[66:67]
	v_add_f64 v[2:3], v[2:3], v[98:99]
	v_fma_f64 v[172:173], v[16:17], s[6:7], v[205:206]
	v_add_f64 v[136:137], v[136:137], -v[138:139]
	v_fma_f64 v[14:15], v[16:17], s[14:15], v[14:15]
	v_add_f64 v[4:5], v[4:5], v[116:117]
	v_add_f64 v[16:17], v[207:208], v[209:210]
	v_fma_f64 v[12:13], v[125:126], s[10:11], v[12:13]
	v_fma_f64 v[62:63], v[60:61], s[10:11], v[62:63]
	;; [unrolled: 1-line block ×4, first 2 shown]
	v_fma_f64 v[8:9], v[174:175], -0.5, v[8:9]
	v_fma_f64 v[32:33], v[40:41], s[14:15], v[32:33]
	v_add_f64 v[40:41], v[213:214], v[215:216]
	v_add_f64 v[6:7], v[6:7], v[120:121]
	;; [unrolled: 1-line block ×3, first 2 shown]
	v_fma_f64 v[28:29], v[64:65], s[10:11], v[28:29]
	v_fma_f64 v[22:23], v[60:61], s[10:11], v[22:23]
	;; [unrolled: 1-line block ×3, first 2 shown]
	ds_write2_b64 v124, v[20:21], v[0:1] offset0:30 offset1:45
	v_add_f64 v[0:1], v[66:67], -v[134:135]
	v_add_f64 v[20:21], v[54:55], -v[52:53]
	v_add_f64 v[138:139], v[38:39], v[203:204]
	v_mul_u32_u24_e32 v38, 0x258, v163
	v_lshlrev_b32_sdwa v39, v199, v164 dst_sel:DWORD dst_unused:UNUSED_PAD src0_sel:DWORD src1_sel:WORD_0
	v_add_f64 v[2:3], v[2:3], v[118:119]
	v_fma_f64 v[64:65], v[24:25], s[10:11], v[172:173]
	v_add_f64 v[4:5], v[4:5], v[104:105]
	v_fma_f64 v[60:61], v[142:143], s[10:11], v[165:166]
	v_add3_u32 v127, 0, v38, v39
	v_fma_f64 v[18:19], v[142:143], s[10:11], v[18:19]
	v_fma_f64 v[14:15], v[24:25], s[10:11], v[14:15]
	;; [unrolled: 1-line block ×7, first 2 shown]
	v_add_f64 v[6:7], v[6:7], v[88:89]
	v_fma_f64 v[34:35], v[40:41], s[10:11], v[34:35]
	v_mul_u32_u24_e32 v40, 0x258, v167
	v_lshlrev_b32_sdwa v41, v199, v170 dst_sel:DWORD dst_unused:UNUSED_PAD src0_sel:DWORD src1_sel:WORD_0
	v_add_f64 v[26:27], v[26:27], v[54:55]
	v_mul_u32_u24_e32 v125, 0x258, v168
	v_lshlrev_b32_sdwa v54, v199, v171 dst_sel:DWORD dst_unused:UNUSED_PAD src0_sel:DWORD src1_sel:WORD_0
	v_fma_f64 v[36:37], v[136:137], s[14:15], v[36:37]
	v_add3_u32 v126, 0, v40, v41
	ds_write_b64 v124, v[12:13] offset:480
	ds_write2_b64 v127, v[2:3], v[62:63] offset1:15
	v_add3_u32 v125, 0, v125, v54
	v_add_f64 v[2:3], v[10:11], v[70:71]
	ds_write2_b64 v127, v[30:31], v[28:29] offset0:30 offset1:45
	ds_write_b64 v127, v[22:23] offset:480
	ds_write2_b64 v126, v[4:5], v[64:65] offset1:15
	ds_write2_b64 v126, v[60:61], v[18:19] offset0:30 offset1:45
	ds_write_b64 v126, v[14:15] offset:480
	ds_write2_b64 v125, v[6:7], v[32:33] offset1:15
	ds_write2_b64 v125, v[24:25], v[16:17] offset0:30 offset1:45
	v_add_f64 v[12:13], v[70:71], v[148:149]
	v_fma_f64 v[24:25], v[42:43], s[4:5], v[140:141]
	v_add_f64 v[20:21], v[0:1], v[20:21]
	v_fma_f64 v[22:23], v[42:43], s[14:15], v[38:39]
	v_fma_f64 v[8:9], v[42:43], s[6:7], v[8:9]
	v_add_f64 v[165:166], v[146:147], v[76:77]
	v_add_f64 v[167:168], v[56:57], -v[58:59]
	v_add_f64 v[134:135], v[26:27], v[52:53]
	v_add_f64 v[26:27], v[130:131], v[132:133]
	;; [unrolled: 1-line block ×3, first 2 shown]
	v_fma_f64 v[142:143], v[138:139], s[10:11], v[36:37]
	v_add_f64 v[175:176], v[70:71], -v[130:131]
	v_add_f64 v[82:83], v[128:129], -v[82:83]
	;; [unrolled: 1-line block ×4, first 2 shown]
	v_add_f64 v[140:141], v[2:3], v[130:131]
	v_add_f64 v[177:178], v[148:149], -v[132:133]
	v_add_f64 v[130:131], v[44:45], v[146:147]
	ds_write_b64 v125, v[34:35] offset:480
	s_waitcnt lgkmcnt(0)
	s_barrier
	buffer_gl0_inv
	v_fma_f64 v[163:164], v[12:13], -0.5, v[10:11]
	v_fma_f64 v[136:137], v[136:137], s[6:7], v[24:25]
	ds_read2_b64 v[4:7], v181 offset1:125
	v_fma_f64 v[171:172], v[20:21], s[10:11], v[22:23]
	v_fma_f64 v[173:174], v[20:21], s[10:11], v[8:9]
	ds_read2_b64 v[0:3], v187 offset0:122 offset1:247
	ds_read2_b64 v[64:67], v190 offset0:110 offset1:235
	;; [unrolled: 1-line block ×11, first 2 shown]
	v_fma_f64 v[201:202], v[26:27], -0.5, v[10:11]
	ds_read2_b64 v[24:27], v195 offset0:80 offset1:205
	ds_read2_b64 v[20:23], v192 offset0:62 offset1:187
	;; [unrolled: 1-line block ×3, first 2 shown]
	s_waitcnt lgkmcnt(0)
	s_barrier
	v_add_f64 v[152:153], v[152:153], -v[158:159]
	buffer_gl0_inv
	v_add_f64 v[140:141], v[140:141], v[132:133]
	v_add_f64 v[132:133], v[154:155], -v[156:157]
	v_fma_f64 v[154:155], v[165:166], -0.5, v[44:45]
	v_fma_f64 v[44:45], v[169:170], -0.5, v[44:45]
	v_add_f64 v[158:159], v[80:81], v[78:79]
	ds_write2_b64 v122, v[134:135], v[142:143] offset1:15
	ds_write2_b64 v122, v[171:172], v[173:174] offset0:30 offset1:45
	v_fma_f64 v[156:157], v[167:168], s[4:5], v[163:164]
	v_fma_f64 v[134:135], v[138:139], s[10:11], v[136:137]
	;; [unrolled: 1-line block ×3, first 2 shown]
	v_add_f64 v[163:164], v[146:147], -v[150:151]
	v_add_f64 v[165:166], v[76:77], -v[84:85]
	v_add_f64 v[70:71], v[70:71], v[128:129]
	v_add_f64 v[128:129], v[86:87], v[68:69]
	;; [unrolled: 1-line block ×7, first 2 shown]
	v_fma_f64 v[142:143], v[82:83], s[12:13], v[201:202]
	v_fma_f64 v[148:149], v[82:83], s[4:5], v[201:202]
	v_add_f64 v[146:147], v[150:151], -v[146:147]
	v_add_f64 v[150:151], v[84:85], -v[76:77]
	v_fma_f64 v[169:170], v[132:133], s[4:5], v[154:155]
	v_fma_f64 v[154:155], v[132:133], s[12:13], v[154:155]
	;; [unrolled: 1-line block ×4, first 2 shown]
	v_fma_f64 v[158:159], v[158:159], -0.5, v[46:47]
	v_add_f64 v[118:119], v[144:145], -v[118:119]
	v_fma_f64 v[156:157], v[82:83], s[14:15], v[156:157]
	v_add_f64 v[144:145], v[92:93], v[72:73]
	v_fma_f64 v[82:83], v[82:83], s[6:7], v[138:139]
	v_add_f64 v[138:139], v[96:97], v[90:91]
	v_add_f64 v[163:164], v[163:164], v[165:166]
	;; [unrolled: 1-line block ×3, first 2 shown]
	v_fma_f64 v[46:47], v[128:129], -0.5, v[46:47]
	v_add_f64 v[94:95], v[94:95], -v[98:99]
	v_add_f64 v[84:85], v[130:131], v[84:85]
	v_add_f64 v[130:131], v[48:49], v[102:103]
	v_add_f64 v[104:105], v[110:111], -v[104:105]
	v_fma_f64 v[110:111], v[171:172], -0.5, v[48:49]
	v_add_f64 v[114:115], v[114:115], -v[116:117]
	v_fma_f64 v[48:49], v[175:176], -0.5, v[48:49]
	v_add_f64 v[88:89], v[108:109], -v[88:89]
	v_add_f64 v[98:99], v[146:147], v[150:151]
	v_fma_f64 v[128:129], v[152:153], s[14:15], v[169:170]
	v_fma_f64 v[146:147], v[152:153], s[6:7], v[154:155]
	;; [unrolled: 1-line block ×4, first 2 shown]
	v_add_f64 v[152:153], v[50:51], v[92:93]
	v_fma_f64 v[132:133], v[118:119], s[12:13], v[158:159]
	v_add_f64 v[108:109], v[112:113], -v[120:121]
	v_fma_f64 v[112:113], v[118:119], s[4:5], v[158:159]
	v_add_f64 v[177:178], v[86:87], -v[80:81]
	v_fma_f64 v[138:139], v[138:139], -0.5, v[50:51]
	v_fma_f64 v[50:51], v[144:145], -0.5, v[50:51]
	v_add_f64 v[201:202], v[68:69], -v[78:79]
	v_add_f64 v[120:121], v[165:166], v[80:81]
	v_add_f64 v[80:81], v[80:81], -v[86:87]
	v_fma_f64 v[86:87], v[94:95], s[4:5], v[46:47]
	v_add_f64 v[144:145], v[78:79], -v[68:69]
	v_fma_f64 v[46:47], v[94:95], s[12:13], v[46:47]
	v_fma_f64 v[142:143], v[167:168], s[14:15], v[142:143]
	;; [unrolled: 1-line block ×3, first 2 shown]
	v_add_f64 v[154:155], v[102:103], -v[106:107]
	v_add_f64 v[130:131], v[130:131], v[106:107]
	v_add_f64 v[102:103], v[106:107], -v[102:103]
	v_add_f64 v[106:107], v[100:101], -v[74:75]
	v_fma_f64 v[167:168], v[114:115], s[4:5], v[48:49]
	v_fma_f64 v[48:49], v[114:115], s[12:13], v[48:49]
	v_add_f64 v[158:159], v[74:75], -v[100:101]
	v_fma_f64 v[165:166], v[104:105], s[12:13], v[110:111]
	v_fma_f64 v[110:111], v[104:105], s[4:5], v[110:111]
	v_add_f64 v[169:170], v[92:93], -v[96:97]
	v_add_f64 v[171:172], v[72:73], -v[90:91]
	v_add_f64 v[152:153], v[152:153], v[96:97]
	v_add_f64 v[92:93], v[96:97], -v[92:93]
	v_add_f64 v[96:97], v[90:91], -v[72:73]
	v_fma_f64 v[173:174], v[88:89], s[12:13], v[138:139]
	v_fma_f64 v[175:176], v[108:109], s[4:5], v[50:51]
	;; [unrolled: 1-line block ×6, first 2 shown]
	v_add_f64 v[116:117], v[177:178], v[201:202]
	v_add_f64 v[78:79], v[120:121], v[78:79]
	;; [unrolled: 1-line block ×3, first 2 shown]
	v_fma_f64 v[86:87], v[118:119], s[14:15], v[86:87]
	v_fma_f64 v[46:47], v[118:119], s[6:7], v[46:47]
	v_add_f64 v[102:103], v[102:103], v[106:107]
	v_fma_f64 v[106:107], v[104:105], s[14:15], v[167:168]
	v_fma_f64 v[48:49], v[104:105], s[6:7], v[48:49]
	v_add_f64 v[118:119], v[154:155], v[158:159]
	v_fma_f64 v[120:121], v[114:115], s[14:15], v[165:166]
	v_add_f64 v[100:101], v[130:131], v[100:101]
	v_fma_f64 v[110:111], v[114:115], s[6:7], v[110:111]
	v_fma_f64 v[114:115], v[70:71], s[10:11], v[156:157]
	;; [unrolled: 1-line block ×5, first 2 shown]
	v_add_f64 v[76:77], v[84:85], v[76:77]
	v_fma_f64 v[84:85], v[163:164], s[10:11], v[150:151]
	v_add_f64 v[130:131], v[169:170], v[171:172]
	v_add_f64 v[90:91], v[152:153], v[90:91]
	;; [unrolled: 1-line block ×3, first 2 shown]
	v_fma_f64 v[96:97], v[108:109], s[14:15], v[173:174]
	v_fma_f64 v[138:139], v[88:89], s[14:15], v[175:176]
	;; [unrolled: 1-line block ×7, first 2 shown]
	v_add_f64 v[68:69], v[78:79], v[68:69]
	v_fma_f64 v[78:79], v[116:117], s[10:11], v[132:133]
	v_fma_f64 v[86:87], v[80:81], s[10:11], v[86:87]
	v_fma_f64 v[46:47], v[80:81], s[10:11], v[46:47]
	v_fma_f64 v[94:95], v[116:117], s[10:11], v[94:95]
	v_fma_f64 v[106:107], v[102:103], s[10:11], v[106:107]
	v_fma_f64 v[48:49], v[102:103], s[10:11], v[48:49]
	v_add_f64 v[74:75], v[100:101], v[74:75]
	v_fma_f64 v[80:81], v[118:119], s[10:11], v[120:121]
	ds_write_b64 v122, v[134:135] offset:480
	ds_write2_b64 v123, v[140:141], v[104:105] offset1:15
	ds_write2_b64 v123, v[114:115], v[70:71] offset0:30 offset1:45
	ds_write_b64 v123, v[82:83] offset:480
	ds_write2_b64 v124, v[76:77], v[84:85] offset1:15
	ds_write2_b64 v124, v[108:109], v[98:99] offset0:30 offset1:45
	ds_write_b64 v124, v[44:45] offset:480
	v_mul_lo_u16 v44, 0xdb, v243
	v_add_f64 v[72:73], v[90:91], v[72:73]
	v_fma_f64 v[90:91], v[130:131], s[10:11], v[96:97]
	v_fma_f64 v[96:97], v[92:93], s[10:11], v[138:139]
	;; [unrolled: 1-line block ×3, first 2 shown]
	v_add_nc_u32_e32 v92, 0xffffffb5, v179
	v_lshrrev_b16 v177, 14, v44
	v_fma_f64 v[100:101], v[118:119], s[10:11], v[110:111]
	v_fma_f64 v[70:71], v[130:131], s[10:11], v[88:89]
	ds_write2_b64 v127, v[68:69], v[78:79] offset1:15
	ds_write2_b64 v127, v[86:87], v[46:47] offset0:30 offset1:45
	v_cndmask_b32_e64 v176, v92, v179, s0
	v_mul_lo_u16 v46, 0x4b, v177
	v_mov_b32_e32 v124, 0
	ds_write_b64 v127, v[94:95] offset:480
	ds_write2_b64 v126, v[74:75], v[80:81] offset1:15
	ds_write2_b64 v126, v[106:107], v[48:49] offset0:30 offset1:45
	v_mul_i32_i24_e32 v123, 9, v176
	v_sub_nc_u16 v178, v196, v46
	v_mov_b32_e32 v46, 9
	v_mov_b32_e32 v47, 0xb4e9
	;; [unrolled: 1-line block ×3, first 2 shown]
	v_lshlrev_b64 v[44:45], 4, v[123:124]
	v_mov_b32_e32 v160, 0x1770
	v_mul_u32_u24_sdwa v48, v178, v46 dst_sel:DWORD dst_unused:UNUSED_PAD src0_sel:BYTE_0 src1_sel:DWORD
	v_mul_u32_u24_sdwa v47, v188, v47 dst_sel:DWORD dst_unused:UNUSED_PAD src0_sel:WORD_0 src1_sel:DWORD
	v_lshlrev_b32_sdwa v162, v199, v178 dst_sel:DWORD dst_unused:UNUSED_PAD src0_sel:DWORD src1_sel:BYTE_0
	v_add_co_u32 v44, s0, s8, v44
	v_add_co_ci_u32_e64 v45, s0, s9, v45, s0
	v_lshlrev_b32_e32 v48, 4, v48
	ds_write_b64 v126, v[100:101] offset:480
	ds_write2_b64 v125, v[72:73], v[90:91] offset1:15
	ds_write2_b64 v125, v[96:97], v[50:51] offset0:30 offset1:45
	ds_write_b64 v125, v[70:71] offset:480
	s_waitcnt lgkmcnt(0)
	s_barrier
	buffer_gl0_inv
	s_clause 0x4
	global_load_dwordx4 v[116:119], v[44:45], off offset:1168
	global_load_dwordx4 v[120:123], v48, s[8:9] offset:1168
	global_load_dwordx4 v[125:128], v[44:45], off offset:1200
	global_load_dwordx4 v[129:132], v48, s[8:9] offset:1200
	global_load_dwordx4 v[141:144], v48, s[8:9] offset:1232
	v_lshrrev_b32_e32 v47, 16, v47
	s_clause 0x2
	global_load_dwordx4 v[137:140], v[44:45], off offset:1232
	global_load_dwordx4 v[163:166], v48, s[8:9] offset:1264
	global_load_dwordx4 v[145:148], v[44:45], off offset:1264
	v_cmp_lt_u32_e64 s0, 0x4a, v179
	v_sub_nc_u16 v49, v188, v47
	v_mul_u32_u24_sdwa v161, v177, v160 dst_sel:DWORD dst_unused:UNUSED_PAD src0_sel:WORD_0 src1_sel:DWORD
	v_lshrrev_b16 v49, 1, v49
	v_add3_u32 v161, 0, v161, v162
	v_add_nc_u16 v47, v49, v47
	v_add_nc_u32_e32 v162, 0x800, v161
	v_add_nc_u32_e32 v178, 0x1000, v161
	v_lshrrev_b16 v159, 6, v47
	v_mul_lo_u16 v47, 0x4b, v159
	v_mul_u32_u24_sdwa v159, v159, v160 dst_sel:DWORD dst_unused:UNUSED_PAD src0_sel:WORD_0 src1_sel:DWORD
	v_sub_nc_u16 v175, v188, v47
	v_mul_u32_u24_sdwa v46, v175, v46 dst_sel:DWORD dst_unused:UNUSED_PAD src0_sel:WORD_0 src1_sel:DWORD
	v_lshlrev_b32_sdwa v160, v199, v175 dst_sel:DWORD dst_unused:UNUSED_PAD src0_sel:DWORD src1_sel:WORD_0
	v_add_nc_u32_e32 v175, 0xc00, v161
	v_lshlrev_b32_e32 v46, 4, v46
	s_clause 0x12
	global_load_dwordx4 v[167:170], v48, s[8:9] offset:1152
	global_load_dwordx4 v[171:174], v46, s[8:9] offset:1152
	global_load_dwordx4 v[200:203], v[44:45], off offset:1216
	global_load_dwordx4 v[204:207], v[44:45], off offset:1248
	;; [unrolled: 1-line block ×3, first 2 shown]
	global_load_dwordx4 v[88:91], v46, s[8:9] offset:1168
	global_load_dwordx4 v[104:107], v[44:45], off offset:1280
	global_load_dwordx4 v[108:111], v[44:45], off offset:1152
	global_load_dwordx4 v[112:115], v48, s[8:9] offset:1184
	global_load_dwordx4 v[100:103], v46, s[8:9] offset:1184
	;; [unrolled: 1-line block ×11, first 2 shown]
	ds_read2_b64 v[133:136], v190 offset0:110 offset1:235
	ds_read2_b64 v[151:154], v186 offset0:92 offset1:217
	;; [unrolled: 1-line block ×5, first 2 shown]
	v_add3_u32 v159, 0, v159, v160
	v_mov_b32_e32 v160, v187
	s_waitcnt vmcnt(25) lgkmcnt(4)
	v_mul_f64 v[157:158], v[135:136], v[122:123]
	v_mul_f64 v[149:150], v[133:134], v[118:119]
	;; [unrolled: 1-line block ×4, first 2 shown]
	s_waitcnt vmcnt(24) lgkmcnt(3)
	v_mul_f64 v[224:225], v[151:152], v[127:128]
	v_mul_f64 v[226:227], v[60:61], v[127:128]
	s_waitcnt vmcnt(23)
	v_mul_f64 v[228:229], v[153:154], v[131:132]
	v_mul_f64 v[131:132], v[62:63], v[131:132]
	s_waitcnt vmcnt(21) lgkmcnt(2)
	v_mul_f64 v[230:231], v[212:213], v[139:140]
	v_mul_f64 v[139:140], v[52:53], v[139:140]
	;; [unrolled: 1-line block ×4, first 2 shown]
	v_fma_f64 v[155:156], v[64:65], v[116:117], v[149:150]
	v_fma_f64 v[143:144], v[133:134], v[116:117], -v[118:119]
	v_fma_f64 v[133:134], v[66:67], v[120:121], v[157:158]
	v_fma_f64 v[127:128], v[135:136], v[120:121], -v[122:123]
	v_fma_f64 v[149:150], v[60:61], v[125:126], v[224:225]
	s_waitcnt vmcnt(19) lgkmcnt(1)
	v_mul_f64 v[120:121], v[216:217], v[147:148]
	v_mul_f64 v[122:123], v[32:33], v[147:148]
	v_fma_f64 v[147:148], v[151:152], v[125:126], -v[226:227]
	v_mul_f64 v[125:126], v[218:219], v[165:166]
	v_mul_f64 v[165:166], v[34:35], v[165:166]
	ds_read2_b64 v[116:119], v189 offset0:104 offset1:229
	v_fma_f64 v[135:136], v[62:63], v[129:130], v[228:229]
	ds_read2_b64 v[64:67], v197 offset0:86 offset1:211
	ds_read2_b64 v[60:63], v183 offset0:68 offset1:193
	v_fma_f64 v[131:132], v[153:154], v[129:130], -v[131:132]
	s_waitcnt vmcnt(18) lgkmcnt(3)
	v_mul_f64 v[224:225], v[220:221], v[169:170]
	v_mul_f64 v[169:170], v[56:57], v[169:170]
	v_fma_f64 v[151:152], v[212:213], v[137:138], -v[139:140]
	s_waitcnt vmcnt(16)
	v_mul_f64 v[212:213], v[30:31], v[202:203]
	v_fma_f64 v[129:130], v[214:215], v[141:142], -v[234:235]
	s_waitcnt vmcnt(15)
	v_mul_f64 v[214:215], v[18:19], v[206:207]
	v_mul_f64 v[226:227], v[222:223], v[173:174]
	v_fma_f64 v[153:154], v[52:53], v[137:138], v[230:231]
	v_fma_f64 v[137:138], v[54:55], v[141:142], v[232:233]
	ds_read2_b64 v[52:55], v182 offset0:50 offset1:175
	v_mul_f64 v[173:174], v[58:59], v[173:174]
	v_mov_b32_e32 v183, v190
	v_fma_f64 v[157:158], v[32:33], v[145:146], v[120:121]
	v_fma_f64 v[145:146], v[216:217], v[145:146], -v[122:123]
	ds_read2_b64 v[120:123], v193 offset0:98 offset1:223
	s_waitcnt vmcnt(14) lgkmcnt(4)
	v_mul_f64 v[228:229], v[118:119], v[210:211]
	v_mul_f64 v[210:211], v[42:43], v[210:211]
	s_waitcnt lgkmcnt(3)
	v_mul_f64 v[202:203], v[66:67], v[202:203]
	v_fma_f64 v[139:140], v[34:35], v[163:164], v[125:126]
	s_waitcnt lgkmcnt(2)
	v_mul_f64 v[206:207], v[62:63], v[206:207]
	v_fma_f64 v[125:126], v[218:219], v[163:164], -v[165:166]
	s_waitcnt vmcnt(12)
	v_mul_f64 v[218:219], v[14:15], v[106:107]
	ds_read2_b64 v[32:35], v187 offset0:122 offset1:247
	v_mul_f64 v[216:217], v[116:117], v[90:91]
	v_fma_f64 v[141:142], v[220:221], v[167:168], -v[169:170]
	v_mul_f64 v[169:170], v[40:41], v[90:91]
	v_fma_f64 v[90:91], v[66:67], v[200:201], -v[212:213]
	s_waitcnt vmcnt(11)
	v_mul_f64 v[212:213], v[2:3], v[110:111]
	v_fma_f64 v[66:67], v[62:63], v[204:205], -v[214:215]
	s_waitcnt lgkmcnt(2)
	v_mul_f64 v[214:215], v[54:55], v[106:107]
	v_fma_f64 v[165:166], v[56:57], v[167:168], v[224:225]
	v_fma_f64 v[163:164], v[58:59], v[171:172], v[226:227]
	ds_read2_b64 v[56:59], v195 offset0:80 offset1:205
	v_fma_f64 v[62:63], v[222:223], v[171:172], -v[173:174]
	s_waitcnt vmcnt(9) lgkmcnt(2)
	v_mul_f64 v[220:221], v[122:123], v[102:103]
	v_mul_f64 v[171:172], v[38:39], v[102:103]
	s_waitcnt vmcnt(8)
	v_mul_f64 v[173:174], v[64:65], v[98:99]
	v_fma_f64 v[167:168], v[42:43], v[208:209], v[228:229]
	v_fma_f64 v[106:107], v[118:119], v[208:209], -v[210:211]
	v_mul_f64 v[208:209], v[120:121], v[114:115]
	v_mul_f64 v[210:211], v[36:37], v[114:115]
	v_fma_f64 v[114:115], v[30:31], v[200:201], v[202:203]
	s_waitcnt lgkmcnt(1)
	v_mul_f64 v[200:201], v[34:35], v[110:111]
	v_fma_f64 v[110:111], v[18:19], v[204:205], v[206:207]
	v_mul_f64 v[118:119], v[28:29], v[98:99]
	v_fma_f64 v[18:19], v[54:55], v[104:105], -v[218:219]
	v_fma_f64 v[30:31], v[40:41], v[88:89], v[216:217]
	ds_read2_b64 v[40:43], v192 offset0:62 offset1:187
	s_waitcnt vmcnt(7)
	v_mul_f64 v[102:103], v[24:25], v[94:95]
	s_waitcnt vmcnt(6)
	v_mul_f64 v[54:55], v[26:27], v[86:87]
	v_add_f64 v[202:203], v[90:91], v[66:67]
	v_fma_f64 v[104:105], v[14:15], v[104:105], v[214:215]
	s_waitcnt lgkmcnt(1)
	v_mul_f64 v[98:99], v[56:57], v[94:95]
	v_mul_f64 v[94:95], v[58:59], v[86:87]
	v_fma_f64 v[86:87], v[34:35], v[108:109], -v[212:213]
	s_waitcnt vmcnt(5)
	v_mul_f64 v[204:205], v[60:61], v[82:83]
	v_fma_f64 v[34:35], v[116:117], v[88:89], -v[169:170]
	v_mul_f64 v[116:117], v[16:17], v[82:83]
	v_add_f64 v[169:170], v[149:150], v[153:154]
	v_fma_f64 v[82:83], v[38:39], v[100:101], v[220:221]
	v_fma_f64 v[38:39], v[122:123], v[100:101], -v[171:172]
	v_fma_f64 v[88:89], v[36:37], v[112:113], v[208:209]
	v_fma_f64 v[14:15], v[120:121], v[112:113], -v[210:211]
	s_waitcnt vmcnt(4)
	v_mul_f64 v[112:113], v[20:21], v[78:79]
	v_fma_f64 v[2:3], v[2:3], v[108:109], v[200:201]
	v_add_f64 v[108:109], v[114:115], v[110:111]
	v_fma_f64 v[36:37], v[64:65], v[96:97], -v[118:119]
	s_waitcnt lgkmcnt(0)
	v_mul_f64 v[100:101], v[40:41], v[78:79]
	v_add_f64 v[64:65], v[106:107], v[18:19]
	ds_read2_b64 v[120:123], v194 offset0:44 offset1:169
	v_fma_f64 v[28:29], v[28:29], v[96:97], v[173:174]
	v_add_f64 v[118:119], v[18:19], -v[66:67]
	v_add_f64 v[173:174], v[157:158], -v[153:154]
	;; [unrolled: 1-line block ×3, first 2 shown]
	v_fma_f64 v[96:97], v[24:25], v[92:93], v[98:99]
	v_fma_f64 v[24:25], v[56:57], v[92:93], -v[102:103]
	v_fma_f64 v[78:79], v[26:27], v[84:85], v[94:95]
	v_fma_f64 v[26:27], v[58:59], v[84:85], -v[54:55]
	v_fma_f64 v[84:85], v[202:203], -0.5, v[86:87]
	v_add_f64 v[92:93], v[167:168], -v[104:105]
	v_fma_f64 v[56:57], v[16:17], v[80:81], v[204:205]
	s_waitcnt vmcnt(3)
	v_mul_f64 v[16:17], v[42:43], v[74:75]
	v_fma_f64 v[54:55], v[60:61], v[80:81], -v[116:117]
	v_add_f64 v[58:59], v[4:5], v[155:156]
	v_fma_f64 v[60:61], v[169:170], -0.5, v[4:5]
	v_add_f64 v[80:81], v[143:144], -v[145:146]
	v_mul_f64 v[74:75], v[22:23], v[74:75]
	v_add_f64 v[94:95], v[2:3], v[167:168]
	v_fma_f64 v[98:99], v[108:109], -0.5, v[2:3]
	v_add_f64 v[102:103], v[106:107], -v[18:19]
	v_fma_f64 v[100:101], v[20:21], v[76:77], v[100:101]
	s_waitcnt vmcnt(2) lgkmcnt(0)
	v_mul_f64 v[20:21], v[120:121], v[70:71]
	v_fma_f64 v[40:41], v[40:41], v[76:77], -v[112:113]
	v_add_f64 v[108:109], v[167:168], v[104:105]
	v_add_f64 v[112:113], v[114:115], -v[110:111]
	v_fma_f64 v[64:65], v[64:65], -0.5, v[86:87]
	v_add_f64 v[116:117], v[106:107], -v[90:91]
	v_mul_f64 v[70:71], v[8:9], v[70:71]
	v_add_f64 v[169:170], v[155:156], -v[149:150]
	v_add_f64 v[202:203], v[155:156], v[157:158]
	v_add_f64 v[212:213], v[90:91], -v[66:67]
	v_fma_f64 v[171:172], v[92:93], s[12:13], v[84:85]
	v_add_f64 v[216:217], v[66:67], -v[18:19]
	v_fma_f64 v[22:23], v[22:23], v[72:73], v[16:17]
	v_add_f64 v[200:201], v[167:168], -v[114:115]
	v_add_f64 v[206:207], v[58:59], v[149:150]
	v_add_f64 v[204:205], v[104:105], -v[110:111]
	v_fma_f64 v[208:209], v[80:81], s[4:5], v[60:61]
	v_fma_f64 v[58:59], v[42:43], v[72:73], -v[74:75]
	v_add_f64 v[16:17], v[94:95], v[114:115]
	v_fma_f64 v[74:75], v[92:93], s[4:5], v[84:85]
	v_fma_f64 v[94:95], v[102:103], s[4:5], v[98:99]
	s_waitcnt vmcnt(1)
	v_mul_f64 v[76:77], v[52:53], v[50:51]
	v_fma_f64 v[214:215], v[8:9], v[68:69], v[20:21]
	v_add_f64 v[8:9], v[24:25], v[40:41]
	v_add_f64 v[20:21], v[90:91], -v[106:107]
	v_fma_f64 v[2:3], v[108:109], -0.5, v[2:3]
	v_fma_f64 v[42:43], v[112:113], s[4:5], v[64:65]
	v_fma_f64 v[64:65], v[112:113], s[12:13], v[64:65]
	v_add_f64 v[72:73], v[116:117], v[118:119]
	v_mul_f64 v[108:109], v[12:13], v[50:51]
	v_fma_f64 v[50:51], v[120:121], v[68:69], -v[70:71]
	v_fma_f64 v[4:5], v[202:203], -0.5, v[4:5]
	v_fma_f64 v[84:85], v[112:113], s[14:15], v[171:172]
	v_add_f64 v[116:117], v[169:170], v[173:174]
	v_add_f64 v[114:115], v[114:115], -v[167:168]
	v_add_f64 v[120:121], v[110:111], -v[104:105]
	v_add_f64 v[68:69], v[206:207], v[153:154]
	v_add_f64 v[118:119], v[200:201], v[204:205]
	v_fma_f64 v[70:71], v[210:211], s[6:7], v[208:209]
	v_fma_f64 v[60:61], v[80:81], s[12:13], v[60:61]
	v_add_f64 v[110:111], v[16:17], v[110:111]
	v_add_f64 v[173:174], v[135:136], v[137:138]
	v_fma_f64 v[16:17], v[212:213], s[6:7], v[94:95]
	v_add_f64 v[94:95], v[96:97], v[100:101]
	v_add_f64 v[169:170], v[88:89], -v[214:215]
	v_fma_f64 v[167:168], v[8:9], -0.5, v[141:142]
	v_add_f64 v[20:21], v[20:21], v[216:217]
	v_fma_f64 v[8:9], v[212:213], s[12:13], v[2:3]
	v_fma_f64 v[2:3], v[212:213], s[4:5], v[2:3]
	;; [unrolled: 1-line block ×6, first 2 shown]
	v_add_f64 v[112:113], v[153:154], -v[157:158]
	v_fma_f64 v[74:75], v[72:73], s[10:11], v[84:85]
	v_add_f64 v[84:85], v[149:150], -v[155:156]
	v_fma_f64 v[171:172], v[210:211], s[12:13], v[4:5]
	v_fma_f64 v[4:5], v[210:211], s[4:5], v[4:5]
	v_add_f64 v[114:115], v[114:115], v[120:121]
	v_add_f64 v[120:121], v[50:51], -v[40:41]
	v_fma_f64 v[202:203], v[116:117], s[10:11], v[70:71]
	v_add_f64 v[70:71], v[14:15], -v[24:25]
	v_add_f64 v[204:205], v[14:15], -v[50:51]
	;; [unrolled: 1-line block ×3, first 2 shown]
	v_add_f64 v[200:201], v[68:69], v[157:158]
	v_fma_f64 v[94:95], v[94:95], -0.5, v[165:166]
	v_fma_f64 v[16:17], v[118:119], s[10:11], v[16:17]
	v_fma_f64 v[206:207], v[169:170], s[12:13], v[167:168]
	;; [unrolled: 1-line block ×9, first 2 shown]
	v_fma_f64 v[98:99], v[173:174], -0.5, v[6:7]
	v_mul_f64 v[72:73], v[74:75], s[6:7]
	v_add_f64 v[84:85], v[84:85], v[112:113]
	v_fma_f64 v[92:93], v[80:81], s[6:7], v[171:172]
	v_fma_f64 v[4:5], v[80:81], s[14:15], v[4:5]
	v_add_f64 v[80:81], v[88:89], -v[96:97]
	v_add_f64 v[102:103], v[214:215], -v[100:101]
	v_add_f64 v[112:113], v[6:7], v[133:134]
	v_add_f64 v[171:172], v[127:128], -v[125:126]
	v_add_f64 v[173:174], v[165:166], v[88:89]
	v_add_f64 v[120:121], v[70:71], v[120:121]
	v_add_f64 v[212:213], v[24:25], -v[40:41]
	v_fma_f64 v[210:211], v[204:205], s[4:5], v[94:95]
	v_add_f64 v[104:105], v[110:111], v[104:105]
	v_fma_f64 v[206:207], v[208:209], s[14:15], v[206:207]
	v_fma_f64 v[116:117], v[116:117], s[10:11], v[60:61]
	;; [unrolled: 1-line block ×4, first 2 shown]
	v_mul_f64 v[2:3], v[8:9], s[4:5]
	v_mul_f64 v[114:115], v[20:21], s[4:5]
	v_fma_f64 v[42:43], v[118:119], s[10:11], v[42:43]
	v_mul_f64 v[118:119], v[68:69], s[6:7]
	v_add_f64 v[216:217], v[139:140], -v[137:138]
	v_fma_f64 v[110:111], v[16:17], s[16:17], v[72:73]
	v_add_f64 v[218:219], v[131:132], -v[129:130]
	v_fma_f64 v[92:93], v[84:85], s[10:11], v[92:93]
	v_fma_f64 v[84:85], v[84:85], s[10:11], v[4:5]
	v_add_f64 v[4:5], v[133:134], -v[135:136]
	v_add_f64 v[102:103], v[80:81], v[102:103]
	v_add_f64 v[80:81], v[112:113], v[135:136]
	v_fma_f64 v[112:113], v[171:172], s[4:5], v[98:99]
	v_add_f64 v[173:174], v[173:174], v[96:97]
	s_waitcnt vmcnt(0)
	v_mul_f64 v[220:221], v[10:11], v[46:47]
	v_fma_f64 v[72:73], v[12:13], v[48:49], v[76:77]
	v_fma_f64 v[210:211], v[212:213], s[6:7], v[210:211]
	v_add_f64 v[12:13], v[14:15], v[50:51]
	v_fma_f64 v[60:61], v[120:121], s[10:11], v[206:207]
	v_add_f64 v[222:223], v[133:134], v[139:140]
	v_lshlrev_b32_e32 v76, 3, v176
	v_add_f64 v[176:177], v[135:136], -v[133:134]
	v_fma_f64 v[206:207], v[70:71], s[10:11], v[2:3]
	v_fma_f64 v[114:115], v[64:65], s[18:19], v[114:115]
	v_mul_f64 v[2:3], v[122:123], v[46:47]
	v_fma_f64 v[118:119], v[42:43], s[20:21], v[118:119]
	v_fma_f64 v[46:47], v[52:53], v[48:49], -v[108:109]
	v_add_f64 v[52:53], v[200:201], v[104:105]
	v_add_f64 v[108:109], v[202:203], v[110:111]
	v_add_f64 v[104:105], v[200:201], -v[104:105]
	v_add_f64 v[200:201], v[88:89], v[214:215]
	v_add_f64 v[216:217], v[4:5], v[216:217]
	v_cndmask_b32_e64 v4, 0, 0x1770, s0
	v_add_f64 v[80:81], v[80:81], v[137:138]
	v_fma_f64 v[112:113], v[218:219], s[6:7], v[112:113]
	v_add_f64 v[173:174], v[173:174], v[100:101]
	v_add_f64 v[88:89], v[96:97], -v[88:89]
	v_add3_u32 v76, 0, v4, v76
	v_fma_f64 v[48:49], v[102:103], s[10:11], v[210:211]
	v_fma_f64 v[12:13], v[12:13], -0.5, v[141:142]
	v_mul_f64 v[210:211], v[60:61], s[6:7]
	v_fma_f64 v[6:7], v[222:223], -0.5, v[6:7]
	v_add_nc_u32_e32 v77, 0x800, v76
	v_add_f64 v[100:101], v[100:101], -v[214:215]
	v_add_f64 v[224:225], v[92:93], v[206:207]
	v_add_f64 v[226:227], v[84:85], v[114:115]
	v_fma_f64 v[10:11], v[10:11], v[44:45], v[2:3]
	v_fma_f64 v[44:45], v[122:123], v[44:45], -v[220:221]
	v_add_f64 v[228:229], v[116:117], v[118:119]
	ds_read2_b64 v[2:5], v181 offset1:125
	s_waitcnt lgkmcnt(0)
	s_barrier
	buffer_gl0_inv
	ds_write2_b64 v76, v[52:53], v[108:109] offset1:75
	v_add_f64 v[52:53], v[202:203], -v[110:111]
	v_add_f64 v[92:93], v[92:93], -v[206:207]
	;; [unrolled: 1-line block ×3, first 2 shown]
	v_fma_f64 v[114:115], v[200:201], -0.5, v[165:166]
	v_add_f64 v[108:109], v[80:81], v[139:140]
	v_fma_f64 v[110:111], v[216:217], s[10:11], v[112:113]
	v_add_f64 v[112:113], v[173:174], v[214:215]
	v_add_f64 v[116:117], v[116:117], -v[118:119]
	v_fma_f64 v[122:123], v[48:49], s[16:17], v[210:211]
	ds_write2_b64 v76, v[224:225], v[226:227] offset0:150 offset1:225
	ds_write2_b64 v77, v[228:229], v[104:105] offset0:44 offset1:119
	v_add_f64 v[104:105], v[24:25], -v[14:15]
	v_add_f64 v[118:119], v[40:41], -v[50:51]
	v_fma_f64 v[165:166], v[208:209], s[4:5], v[12:13]
	v_add_f64 v[173:174], v[26:27], v[58:59]
	v_add_f64 v[200:201], v[137:138], -v[139:140]
	v_fma_f64 v[12:13], v[208:209], s[12:13], v[12:13]
	v_fma_f64 v[202:203], v[218:219], s[12:13], v[6:7]
	v_add_f64 v[96:97], v[38:39], v[44:45]
	v_add_nc_u32_e32 v80, 0xc00, v76
	v_add_nc_u32_e32 v81, 0x1000, v76
	v_fma_f64 v[214:215], v[212:213], s[12:13], v[114:115]
	v_fma_f64 v[114:115], v[212:213], s[4:5], v[114:115]
	;; [unrolled: 1-line block ×3, first 2 shown]
	ds_write2_b64 v80, v[52:53], v[92:93] offset0:66 offset1:141
	v_add_f64 v[52:53], v[78:79], v[22:23]
	v_add_f64 v[206:207], v[108:109], v[112:113]
	;; [unrolled: 1-line block ×3, first 2 shown]
	v_fma_f64 v[6:7], v[218:219], s[4:5], v[6:7]
	v_fma_f64 v[94:95], v[204:205], s[12:13], v[94:95]
	ds_write2_b64 v81, v[84:85], v[116:117] offset0:88 offset1:163
	v_add_f64 v[84:85], v[82:83], v[10:11]
	v_add_f64 v[116:117], v[78:79], -v[22:23]
	v_add_f64 v[88:89], v[88:89], v[100:101]
	v_add_f64 v[104:105], v[104:105], v[118:119]
	v_fma_f64 v[118:119], v[169:170], s[14:15], v[165:166]
	v_fma_f64 v[92:93], v[173:174], -0.5, v[62:63]
	v_add_f64 v[165:166], v[82:83], -v[10:11]
	v_add_f64 v[173:174], v[176:177], v[200:201]
	v_fma_f64 v[12:13], v[169:170], s[6:7], v[12:13]
	v_fma_f64 v[169:170], v[171:172], s[6:7], v[202:203]
	v_fma_f64 v[96:97], v[96:97], -0.5, v[62:63]
	v_add_f64 v[176:177], v[38:39], -v[26:27]
	v_fma_f64 v[100:101], v[204:205], s[6:7], v[214:215]
	v_fma_f64 v[114:115], v[204:205], s[14:15], v[114:115]
	v_fma_f64 v[167:168], v[208:209], s[6:7], v[167:168]
	v_add_f64 v[200:201], v[44:45], -v[58:59]
	v_fma_f64 v[52:53], v[52:53], -0.5, v[163:164]
	v_add_f64 v[202:203], v[38:39], -v[44:45]
	v_fma_f64 v[98:99], v[171:172], s[12:13], v[98:99]
	ds_write2_b64 v161, v[206:207], v[210:211] offset1:75
	v_fma_f64 v[6:7], v[171:172], s[14:15], v[6:7]
	v_fma_f64 v[94:95], v[212:213], s[14:15], v[94:95]
	v_add_f64 v[171:172], v[28:29], v[56:57]
	v_add_f64 v[206:207], v[30:31], v[72:73]
	v_fma_f64 v[84:85], v[84:85], -0.5, v[163:164]
	v_add_f64 v[208:209], v[26:27], -v[38:39]
	v_fma_f64 v[118:119], v[104:105], s[10:11], v[118:119]
	v_add_f64 v[210:211], v[58:59], -v[44:45]
	v_fma_f64 v[204:205], v[165:166], s[12:13], v[92:93]
	v_fma_f64 v[92:93], v[165:166], s[4:5], v[92:93]
	;; [unrolled: 1-line block ×4, first 2 shown]
	v_add_f64 v[169:170], v[26:27], -v[58:59]
	v_fma_f64 v[212:213], v[116:117], s[4:5], v[96:97]
	v_fma_f64 v[96:97], v[116:117], s[12:13], v[96:97]
	;; [unrolled: 1-line block ×5, first 2 shown]
	v_add_f64 v[120:121], v[82:83], -v[78:79]
	v_add_f64 v[167:168], v[10:11], -v[22:23]
	v_add_f64 v[163:164], v[163:164], v[82:83]
	v_add_f64 v[176:177], v[176:177], v[200:201]
	v_fma_f64 v[200:201], v[202:203], s[4:5], v[52:53]
	v_fma_f64 v[98:99], v[218:219], s[14:15], v[98:99]
	v_fma_f64 v[171:172], v[171:172], -0.5, v[0:1]
	v_add_f64 v[214:215], v[0:1], v[30:31]
	v_add_f64 v[218:219], v[34:35], -v[46:47]
	v_fma_f64 v[0:1], v[206:207], -0.5, v[0:1]
	v_add_f64 v[206:207], v[36:37], -v[54:55]
	v_add_f64 v[82:83], v[78:79], -v[82:83]
	v_fma_f64 v[204:205], v[116:117], s[14:15], v[204:205]
	v_add_f64 v[220:221], v[22:23], -v[10:11]
	v_add_f64 v[208:209], v[208:209], v[210:211]
	v_fma_f64 v[94:95], v[102:103], s[10:11], v[94:95]
	v_fma_f64 v[222:223], v[169:170], s[12:13], v[84:85]
	;; [unrolled: 1-line block ×6, first 2 shown]
	v_mul_f64 v[102:103], v[118:119], s[4:5]
	v_fma_f64 v[96:97], v[165:166], s[6:7], v[96:97]
	v_add_f64 v[120:121], v[120:121], v[167:168]
	v_add_f64 v[78:79], v[163:164], v[78:79]
	v_mul_f64 v[116:117], v[104:105], s[4:5]
	v_fma_f64 v[163:164], v[169:170], s[6:7], v[200:201]
	v_add_f64 v[165:166], v[30:31], -v[28:29]
	v_add_f64 v[212:213], v[72:73], -v[56:57]
	v_add_f64 v[167:168], v[214:215], v[28:29]
	v_fma_f64 v[214:215], v[218:219], s[4:5], v[171:172]
	v_add_f64 v[224:225], v[56:57], -v[72:73]
	v_fma_f64 v[226:227], v[206:207], s[12:13], v[0:1]
	v_fma_f64 v[171:172], v[218:219], s[12:13], v[171:172]
	;; [unrolled: 1-line block ×3, first 2 shown]
	v_add_f64 v[204:205], v[28:29], -v[30:31]
	v_add_f64 v[82:83], v[82:83], v[220:221]
	v_fma_f64 v[0:1], v[206:207], s[4:5], v[0:1]
	v_fma_f64 v[220:221], v[202:203], s[6:7], v[222:223]
	;; [unrolled: 1-line block ×6, first 2 shown]
	v_mul_f64 v[169:170], v[114:115], s[6:7]
	v_fma_f64 v[102:103], v[100:101], s[10:11], v[102:103]
	v_fma_f64 v[96:97], v[208:209], s[10:11], v[96:97]
	v_add_f64 v[22:23], v[78:79], v[22:23]
	v_fma_f64 v[6:7], v[173:174], s[10:11], v[6:7]
	v_fma_f64 v[78:79], v[120:121], s[10:11], v[163:164]
	v_add_f64 v[163:164], v[147:148], v[151:152]
	;; [unrolled: 3-line block ×3, first 2 shown]
	v_add_f64 v[167:168], v[167:168], v[56:57]
	v_fma_f64 v[173:174], v[206:207], s[6:7], v[214:215]
	v_fma_f64 v[208:209], v[218:219], s[6:7], v[226:227]
	v_mul_f64 v[176:177], v[200:201], s[6:7]
	v_add_f64 v[204:205], v[204:205], v[224:225]
	v_fma_f64 v[171:172], v[206:207], s[14:15], v[171:172]
	v_add_f64 v[86:87], v[86:87], v[106:107]
	v_fma_f64 v[210:211], v[82:83], s[10:11], v[220:221]
	v_fma_f64 v[82:83], v[82:83], s[10:11], v[84:85]
	v_mul_f64 v[84:85], v[202:203], s[4:5]
	v_fma_f64 v[52:53], v[120:121], s[10:11], v[52:53]
	v_mul_f64 v[120:121], v[92:93], s[6:7]
	v_fma_f64 v[169:170], v[94:95], s[20:21], v[169:170]
	v_add_f64 v[106:107], v[110:111], -v[122:123]
	v_add_f64 v[110:111], v[12:13], v[102:103]
	v_add_f64 v[12:13], v[12:13], -v[102:103]
	v_add_f64 v[102:103], v[2:3], v[143:144]
	;; [unrolled: 2-line block ×3, first 2 shown]
	v_fma_f64 v[0:1], v[218:219], s[14:15], v[0:1]
	v_mul_f64 v[212:213], v[96:97], s[4:5]
	v_fma_f64 v[157:158], v[163:164], -0.5, v[2:3]
	v_add_f64 v[108:109], v[108:109], -v[112:113]
	v_add_f64 v[112:113], v[6:7], v[116:117]
	v_add_f64 v[163:164], v[167:168], v[72:73]
	v_fma_f64 v[167:168], v[165:166], s[10:11], v[173:174]
	v_add_f64 v[10:11], v[22:23], v[10:11]
	v_fma_f64 v[22:23], v[78:79], s[16:17], v[176:177]
	v_fma_f64 v[173:174], v[204:205], s[10:11], v[208:209]
	v_add_f64 v[6:7], v[6:7], -v[116:117]
	v_fma_f64 v[116:117], v[165:166], s[10:11], v[171:172]
	v_fma_f64 v[84:85], v[210:211], s[10:11], v[84:85]
	v_add_f64 v[86:87], v[86:87], v[90:91]
	v_fma_f64 v[120:121], v[52:53], s[20:21], v[120:121]
	v_add_f64 v[165:166], v[98:99], v[169:170]
	v_add_f64 v[98:99], v[98:99], -v[169:170]
	v_add_f64 v[90:91], v[143:144], -v[147:148]
	;; [unrolled: 1-line block ×3, first 2 shown]
	v_add_f64 v[102:103], v[102:103], v[147:148]
	v_add_f64 v[149:150], v[149:150], -v[153:154]
	v_fma_f64 v[2:3], v[155:156], -0.5, v[2:3]
	v_fma_f64 v[0:1], v[204:205], s[10:11], v[0:1]
	v_fma_f64 v[176:177], v[82:83], s[18:19], v[212:213]
	;; [unrolled: 1-line block ×3, first 2 shown]
	ds_write2_b64 v161, v[110:111], v[112:113] offset0:150 offset1:225
	ds_write2_b64 v162, v[165:166], v[108:109] offset0:44 offset1:119
	;; [unrolled: 1-line block ×4, first 2 shown]
	v_add_f64 v[155:156], v[163:164], v[10:11]
	v_add_f64 v[171:172], v[167:168], v[22:23]
	;; [unrolled: 1-line block ×3, first 2 shown]
	v_add_f64 v[10:11], v[163:164], -v[10:11]
	v_add_f64 v[22:23], v[167:168], -v[22:23]
	v_add_f64 v[163:164], v[116:117], v[120:121]
	v_add_f64 v[84:85], v[173:174], -v[84:85]
	v_add_f64 v[116:117], v[116:117], -v[120:121]
	v_add_f64 v[66:67], v[86:87], v[66:67]
	v_add_f64 v[86:87], v[90:91], v[169:170]
	;; [unrolled: 1-line block ×3, first 2 shown]
	v_add_f64 v[102:103], v[147:148], -v[143:144]
	v_add_f64 v[120:121], v[151:152], -v[145:146]
	v_fma_f64 v[143:144], v[149:150], s[4:5], v[2:3]
	v_fma_f64 v[2:3], v[149:150], s[12:13], v[2:3]
	v_add_f64 v[206:207], v[0:1], v[176:177]
	v_add_f64 v[0:1], v[0:1], -v[176:177]
	v_add_nc_u32_e32 v151, 0x800, v159
	v_add_nc_u32_e32 v152, 0xc00, v159
	v_fma_f64 v[147:148], v[149:150], s[14:15], v[153:154]
	v_add_nc_u32_e32 v153, 0x1000, v159
	ds_write2_b64 v159, v[155:156], v[171:172] offset1:75
	ds_write2_b64 v159, v[204:205], v[206:207] offset0:150 offset1:225
	ds_write2_b64 v151, v[163:164], v[10:11] offset0:44 offset1:119
	v_add_f64 v[6:7], v[131:132], v[129:130]
	v_add_f64 v[98:99], v[127:128], v[125:126]
	ds_write2_b64 v152, v[22:23], v[84:85] offset0:66 offset1:141
	ds_write2_b64 v153, v[0:1], v[116:117] offset0:88 offset1:163
	v_fma_f64 v[22:23], v[122:123], s[4:5], v[157:158]
	v_add_f64 v[84:85], v[90:91], v[145:146]
	v_add_f64 v[90:91], v[102:103], v[120:121]
	v_fma_f64 v[102:103], v[122:123], s[14:15], v[143:144]
	v_fma_f64 v[108:109], v[122:123], s[6:7], v[2:3]
	v_add_f64 v[110:111], v[36:37], v[54:55]
	v_mul_f64 v[112:113], v[8:9], s[10:11]
	v_add_f64 v[116:117], v[141:142], v[14:15]
	v_add_f64 v[120:121], v[4:5], v[127:128]
	;; [unrolled: 1-line block ×3, first 2 shown]
	v_mul_f64 v[143:144], v[20:21], s[18:19]
	v_add_f64 v[133:134], v[133:134], -v[139:140]
	v_add_f64 v[135:136], v[135:136], -v[137:138]
	;; [unrolled: 1-line block ×3, first 2 shown]
	v_add_f64 v[38:39], v[62:63], v[38:39]
	v_add_f64 v[56:57], v[28:29], -v[56:57]
	v_fma_f64 v[106:107], v[86:87], s[10:11], v[147:148]
	v_mul_f64 v[74:75], v[74:75], s[16:17]
	v_mul_f64 v[68:69], v[68:69], s[20:21]
	v_fma_f64 v[122:123], v[6:7], -0.5, v[4:5]
	v_fma_f64 v[98:99], v[98:99], -0.5, v[4:5]
	v_mul_f64 v[60:61], v[60:61], s[16:17]
	v_fma_f64 v[145:146], v[149:150], s[6:7], v[22:23]
	v_add_f64 v[149:150], v[54:55], -v[46:47]
	v_mul_f64 v[104:105], v[104:105], s[18:19]
	v_fma_f64 v[102:103], v[90:91], s[10:11], v[102:103]
	v_fma_f64 v[90:91], v[90:91], s[10:11], v[108:109]
	v_fma_f64 v[108:109], v[110:111], -0.5, v[32:33]
	v_fma_f64 v[70:71], v[70:71], s[12:13], v[112:113]
	v_add_f64 v[24:25], v[116:117], v[24:25]
	v_add_f64 v[110:111], v[127:128], -v[131:132]
	v_add_f64 v[112:113], v[125:126], -v[129:130]
	v_add_f64 v[116:117], v[32:33], v[34:35]
	v_add_f64 v[120:121], v[120:121], v[131:132]
	v_add_f64 v[127:128], v[131:132], -v[127:128]
	v_add_f64 v[131:132], v[129:130], -v[125:126]
	v_fma_f64 v[62:63], v[141:142], -0.5, v[32:33]
	v_fma_f64 v[64:65], v[64:65], s[12:13], v[143:144]
	v_add_f64 v[141:142], v[34:35], -v[36:37]
	v_add_f64 v[143:144], v[46:47], -v[54:55]
	v_mul_f64 v[114:115], v[114:115], s[20:21]
	v_fma_f64 v[137:138], v[133:134], s[12:13], v[122:123]
	v_fma_f64 v[139:140], v[135:136], s[4:5], v[98:99]
	;; [unrolled: 1-line block ×5, first 2 shown]
	v_mul_f64 v[96:97], v[96:97], s[18:19]
	v_mul_f64 v[92:93], v[92:93], s[20:21]
	v_add_f64 v[66:67], v[66:67], v[18:19]
	v_fma_f64 v[145:146], v[72:73], s[12:13], v[108:109]
	v_fma_f64 v[108:109], v[72:73], s[4:5], v[108:109]
	v_add_f64 v[147:148], v[24:25], v[40:41]
	v_fma_f64 v[74:75], v[16:17], s[14:15], v[74:75]
	v_add_f64 v[110:111], v[110:111], v[112:113]
	v_add_f64 v[112:113], v[116:117], v[36:37]
	v_add_f64 v[116:117], v[36:37], -v[34:35]
	v_add_f64 v[120:121], v[120:121], v[129:130]
	v_add_f64 v[129:130], v[38:39], v[26:27]
	;; [unrolled: 1-line block ×3, first 2 shown]
	v_fma_f64 v[131:132], v[56:57], s[4:5], v[62:63]
	v_fma_f64 v[62:63], v[56:57], s[12:13], v[62:63]
	;; [unrolled: 1-line block ×7, first 2 shown]
	v_add_f64 v[133:134], v[141:142], v[143:144]
	v_fma_f64 v[122:123], v[135:136], s[6:7], v[122:123]
	v_mul_f64 v[141:142], v[200:201], s[16:17]
	v_fma_f64 v[88:89], v[88:89], s[12:13], v[104:105]
	v_fma_f64 v[94:95], v[94:95], s[14:15], v[114:115]
	;; [unrolled: 1-line block ×4, first 2 shown]
	v_mul_f64 v[108:109], v[118:119], s[10:11]
	v_add_f64 v[50:51], v[147:148], v[50:51]
	v_fma_f64 v[82:83], v[82:83], s[12:13], v[96:97]
	v_add_f64 v[54:55], v[112:113], v[54:55]
	v_add_f64 v[116:117], v[116:117], v[149:150]
	;; [unrolled: 1-line block ×4, first 2 shown]
	v_fma_f64 v[52:53], v[52:53], s[14:15], v[92:93]
	v_fma_f64 v[131:132], v[72:73], s[14:15], v[131:132]
	;; [unrolled: 1-line block ×3, first 2 shown]
	v_mul_f64 v[72:73], v[202:203], s[10:11]
	v_mov_b32_e32 v158, v192
	v_fma_f64 v[120:121], v[110:111], s[10:11], v[137:138]
	v_fma_f64 v[125:126], v[127:128], s[10:11], v[139:140]
	;; [unrolled: 1-line block ×3, first 2 shown]
	s_waitcnt lgkmcnt(0)
	v_fma_f64 v[104:105], v[110:111], s[10:11], v[122:123]
	s_barrier
	buffer_gl0_inv
	ds_read2_b64 v[0:3], v181 offset1:125
	ds_read2_b64 v[8:11], v190 offset0:110 offset1:235
	ds_read2_b64 v[12:15], v186 offset0:92 offset1:217
	v_fma_f64 v[56:57], v[133:134], s[10:11], v[56:57]
	v_fma_f64 v[100:101], v[100:101], s[12:13], v[108:109]
	ds_read2_b64 v[16:19], v184 offset0:74 offset1:199
	ds_read2_b64 v[20:23], v185 offset0:56 offset1:181
	v_add_f64 v[46:47], v[54:55], v[46:47]
	v_fma_f64 v[54:55], v[133:134], s[10:11], v[135:136]
	ds_read2_b64 v[4:7], v187 offset0:122 offset1:247
	v_add_f64 v[44:45], v[58:59], v[44:45]
	v_fma_f64 v[58:59], v[78:79], s[14:15], v[141:142]
	v_fma_f64 v[78:79], v[116:117], s[10:11], v[131:132]
	;; [unrolled: 1-line block ×4, first 2 shown]
	ds_read2_b64 v[28:31], v189 offset0:104 offset1:229
	ds_read2_b64 v[32:35], v197 offset0:86 offset1:211
	ds_read2_b64 v[36:39], v180 offset0:68 offset1:193
	ds_read2_b64 v[40:43], v182 offset0:50 offset1:175
	ds_read2_b64 v[24:27], v191 offset0:116 offset1:241
	v_add_f64 v[112:113], v[84:85], v[66:67]
	v_add_f64 v[118:119], v[106:107], v[74:75]
	;; [unrolled: 1-line block ×4, first 2 shown]
	v_add_f64 v[66:67], v[84:85], -v[66:67]
	v_add_f64 v[84:85], v[86:87], v[68:69]
	v_add_f64 v[74:75], v[106:107], -v[74:75]
	v_add_f64 v[70:71], v[102:103], -v[70:71]
	;; [unrolled: 1-line block ×4, first 2 shown]
	v_add_f64 v[86:87], v[60:61], v[50:51]
	v_add_f64 v[90:91], v[120:121], v[48:49]
	;; [unrolled: 1-line block ×3, first 2 shown]
	v_add_f64 v[60:61], v[60:61], -v[50:51]
	v_add_f64 v[102:103], v[120:121], -v[48:49]
	;; [unrolled: 1-line block ×3, first 2 shown]
	v_add_f64 v[98:99], v[104:105], v[94:95]
	v_add_f64 v[94:95], v[104:105], -v[94:95]
	v_add_f64 v[104:105], v[46:47], v[44:45]
	v_add_f64 v[106:107], v[46:47], -v[44:45]
	;; [unrolled: 2-line block ×4, first 2 shown]
	v_add_f64 v[78:79], v[62:63], v[82:83]
	v_add_f64 v[116:117], v[56:57], v[52:53]
	v_add_f64 v[62:63], v[62:63], -v[82:83]
	v_add_f64 v[82:83], v[56:57], -v[52:53]
	ds_read2_b64 v[48:51], v193 offset0:98 offset1:223
	ds_read2_b64 v[56:59], v195 offset0:80 offset1:205
	;; [unrolled: 1-line block ×4, first 2 shown]
	v_add_f64 v[92:93], v[125:126], v[100:101]
	v_add_f64 v[100:101], v[125:126], -v[100:101]
	v_mov_b32_e32 v192, v191
	s_waitcnt lgkmcnt(0)
	s_barrier
	buffer_gl0_inv
	ds_write2_b64 v76, v[112:113], v[118:119] offset1:75
	ds_write2_b64 v76, v[129:130], v[143:144] offset0:150 offset1:225
	ds_write2_b64 v77, v[84:85], v[66:67] offset0:44 offset1:119
	ds_write2_b64 v80, v[74:75], v[70:71] offset0:66 offset1:141
	ds_write2_b64 v81, v[64:65], v[68:69] offset0:88 offset1:163
	ds_write2_b64 v161, v[86:87], v[90:91] offset1:75
	ds_write2_b64 v161, v[92:93], v[96:97] offset0:150 offset1:225
	ds_write2_b64 v162, v[98:99], v[60:61] offset0:44 offset1:119
	ds_write2_b64 v175, v[102:103], v[100:101] offset0:66 offset1:141
	ds_write2_b64 v178, v[88:89], v[94:95] offset0:88 offset1:163
	;; [unrolled: 5-line block ×3, first 2 shown]
	s_waitcnt lgkmcnt(0)
	s_barrier
	buffer_gl0_inv
	s_and_saveexec_b32 s0, vcc_lo
	s_cbranch_execz .LBB0_13
; %bb.12:
	v_lshlrev_b32_e32 v123, 2, v255
	buffer_store_dword v241, off, s[24:27], 0 offset:8 ; 4-byte Folded Spill
	v_lshlrev_b64 v[60:61], 4, v[123:124]
	v_lshlrev_b32_e32 v123, 2, v241
	v_lshlrev_b64 v[76:77], 4, v[123:124]
	v_add_co_u32 v62, vcc_lo, s8, v60
	v_add_co_ci_u32_e32 v63, vcc_lo, s9, v61, vcc_lo
	v_lshlrev_b32_e32 v123, 2, v242
	v_add_co_u32 v60, vcc_lo, 0x2800, v62
	v_add_co_ci_u32_e32 v61, vcc_lo, 0, v63, vcc_lo
	v_add_co_u32 v72, vcc_lo, 0x2eb0, v62
	v_add_co_ci_u32_e32 v73, vcc_lo, 0, v63, vcc_lo
	;; [unrolled: 2-line block ×3, first 2 shown]
	v_lshlrev_b64 v[76:77], 4, v[123:124]
	v_add_co_u32 v88, vcc_lo, 0x2eb0, v78
	v_add_co_ci_u32_e32 v89, vcc_lo, 0, v79, vcc_lo
	v_add_co_u32 v84, vcc_lo, 0x2800, v78
	v_add_co_ci_u32_e32 v85, vcc_lo, 0, v79, vcc_lo
	v_add_co_u32 v86, vcc_lo, s8, v76
	v_lshlrev_b32_e32 v123, 2, v188
	v_add_co_ci_u32_e32 v87, vcc_lo, s9, v77, vcc_lo
	v_add_co_u32 v92, vcc_lo, 0x2800, v86
	v_lshlrev_b64 v[108:109], 4, v[123:124]
	v_add_co_ci_u32_e32 v93, vcc_lo, 0, v87, vcc_lo
	v_add_co_u32 v104, vcc_lo, 0x2eb0, v86
	v_lshlrev_b32_e32 v123, 2, v196
	s_clause 0x5
	global_load_dwordx4 v[64:67], v[60:61], off offset:1712
	global_load_dwordx4 v[60:63], v[72:73], off offset:48
	;; [unrolled: 1-line block ×6, first 2 shown]
	v_add_co_ci_u32_e32 v105, vcc_lo, 0, v87, vcc_lo
	v_add_co_u32 v110, vcc_lo, s8, v108
	v_add_co_ci_u32_e32 v111, vcc_lo, s9, v109, vcc_lo
	v_lshlrev_b64 v[108:109], 4, v[123:124]
	v_add_co_u32 v120, vcc_lo, 0x2eb0, v110
	v_add_co_ci_u32_e32 v121, vcc_lo, 0, v111, vcc_lo
	v_lshlrev_b32_e32 v123, 2, v179
	v_add_co_u32 v108, vcc_lo, s8, v108
	v_add_co_ci_u32_e32 v109, vcc_lo, s9, v109, vcc_lo
	v_add_co_u32 v112, vcc_lo, 0x2800, v110
	v_add_co_ci_u32_e32 v113, vcc_lo, 0, v111, vcc_lo
	;; [unrolled: 2-line block ×4, first 2 shown]
	s_clause 0x7
	global_load_dwordx4 v[84:87], v[84:85], off offset:1712
	global_load_dwordx4 v[88:91], v[88:89], off offset:48
	;; [unrolled: 1-line block ×8, first 2 shown]
	v_lshlrev_b64 v[133:134], 4, v[123:124]
	s_clause 0x3
	global_load_dwordx4 v[116:119], v[120:121], off offset:32
	global_load_dwordx4 v[120:123], v[120:121], off offset:48
	;; [unrolled: 1-line block ×4, first 2 shown]
	v_add_co_u32 v141, vcc_lo, s8, v133
	v_add_co_ci_u32_e32 v142, vcc_lo, s9, v134, vcc_lo
	s_clause 0x1
	global_load_dwordx4 v[133:136], v[137:138], off offset:32
	global_load_dwordx4 v[137:140], v[137:138], off offset:16
	v_add_co_u32 v153, vcc_lo, 0x2eb0, v141
	v_add_co_ci_u32_e32 v154, vcc_lo, 0, v142, vcc_lo
	v_add_co_u32 v145, vcc_lo, 0x2800, v141
	v_add_co_ci_u32_e32 v146, vcc_lo, 0, v142, vcc_lo
	s_clause 0x3
	global_load_dwordx4 v[141:144], v[153:154], off offset:16
	global_load_dwordx4 v[145:148], v[145:146], off offset:1712
	global_load_dwordx4 v[149:152], v[153:154], off offset:32
	global_load_dwordx4 v[153:156], v[153:154], off offset:48
	ds_read2_b64 v[163:166], v195 offset0:80 offset1:205
	ds_read2_b64 v[167:170], v158 offset0:62 offset1:187
	;; [unrolled: 1-line block ×14, first 2 shown]
	ds_read2_b64 v[223:226], v181 offset1:125
	s_waitcnt vmcnt(23)
	v_mul_f64 v[231:232], v[50:51], v[66:67]
	s_waitcnt vmcnt(22)
	v_mul_f64 v[233:234], v[46:47], v[62:63]
	;; [unrolled: 2-line block ×4, first 2 shown]
	s_waitcnt lgkmcnt(14)
	v_mul_f64 v[74:75], v[165:166], v[74:75]
	s_waitcnt vmcnt(18)
	v_mul_f64 v[227:228], v[56:57], v[82:83]
	v_mul_f64 v[82:83], v[163:164], v[82:83]
	s_waitcnt lgkmcnt(13)
	v_mul_f64 v[70:71], v[169:170], v[70:71]
	v_mul_f64 v[235:236], v[52:53], v[78:79]
	;; [unrolled: 1-line block ×3, first 2 shown]
	s_waitcnt lgkmcnt(12)
	v_mul_f64 v[66:67], v[173:174], v[66:67]
	s_waitcnt lgkmcnt(11)
	v_mul_f64 v[62:63], v[177:178], v[62:63]
	v_fma_f64 v[157:158], v[72:73], v[165:166], -v[157:158]
	v_fma_f64 v[58:59], v[58:59], v[72:73], v[74:75]
	v_fma_f64 v[165:166], v[68:69], v[169:170], -v[229:230]
	v_fma_f64 v[56:57], v[56:57], v[80:81], v[82:83]
	v_fma_f64 v[54:55], v[54:55], v[68:69], v[70:71]
	v_fma_f64 v[169:170], v[64:65], v[173:174], -v[231:232]
	s_waitcnt vmcnt(15) lgkmcnt(8)
	v_mul_f64 v[68:69], v[201:202], v[94:95]
	v_mul_f64 v[237:238], v[48:49], v[86:87]
	;; [unrolled: 1-line block ×5, first 2 shown]
	v_fma_f64 v[86:87], v[80:81], v[163:164], -v[227:228]
	s_waitcnt vmcnt(12)
	v_mul_f64 v[90:91], v[34:35], v[106:107]
	v_mul_f64 v[163:164], v[30:31], v[94:95]
	;; [unrolled: 1-line block ×5, first 2 shown]
	s_waitcnt lgkmcnt(6)
	v_mul_f64 v[70:71], v[189:190], v[98:99]
	v_fma_f64 v[94:95], v[76:77], v[167:168], -v[235:236]
	s_waitcnt vmcnt(11)
	v_mul_f64 v[98:99], v[32:33], v[110:111]
	s_waitcnt vmcnt(10)
	v_mul_f64 v[167:168], v[28:29], v[114:115]
	v_fma_f64 v[52:53], v[52:53], v[76:77], v[78:79]
	s_waitcnt vmcnt(9)
	v_mul_f64 v[76:77], v[36:37], v[118:119]
	s_waitcnt vmcnt(8)
	v_mul_f64 v[78:79], v[40:41], v[122:123]
	v_mul_f64 v[102:103], v[205:206], v[102:103]
	;; [unrolled: 1-line block ×4, first 2 shown]
	v_fma_f64 v[50:51], v[50:51], v[64:65], v[66:67]
	v_mul_f64 v[64:65], v[199:200], v[114:115]
	v_mul_f64 v[66:67], v[187:188], v[122:123]
	v_fma_f64 v[114:115], v[84:85], v[171:172], -v[237:238]
	s_waitcnt vmcnt(4)
	v_mul_f64 v[122:123], v[14:15], v[139:140]
	v_mul_f64 v[171:172], v[10:11], v[127:128]
	v_fma_f64 v[48:49], v[48:49], v[84:85], v[72:73]
	v_mul_f64 v[72:73], v[18:19], v[135:136]
	v_mul_f64 v[84:85], v[22:23], v[131:132]
	s_waitcnt lgkmcnt(4)
	v_mul_f64 v[139:140], v[213:214], v[139:140]
	s_waitcnt lgkmcnt(2)
	v_mul_f64 v[135:136], v[221:222], v[135:136]
	v_fma_f64 v[173:174], v[60:61], v[177:178], -v[233:234]
	v_fma_f64 v[46:47], v[46:47], v[60:61], v[62:63]
	v_mul_f64 v[60:61], v[217:218], v[127:128]
	s_waitcnt lgkmcnt(1)
	v_mul_f64 v[62:63], v[184:185], v[131:132]
	v_fma_f64 v[127:128], v[88:89], v[175:176], -v[239:240]
	s_waitcnt vmcnt(3)
	v_mul_f64 v[131:132], v[12:13], v[143:144]
	s_waitcnt vmcnt(2)
	v_mul_f64 v[175:176], v[8:9], v[147:148]
	v_fma_f64 v[44:45], v[44:45], v[88:89], v[74:75]
	s_waitcnt vmcnt(1)
	v_mul_f64 v[74:75], v[16:17], v[151:152]
	s_waitcnt vmcnt(0)
	v_mul_f64 v[88:89], v[20:21], v[155:156]
	v_mul_f64 v[143:144], v[211:212], v[143:144]
	;; [unrolled: 1-line block ×3, first 2 shown]
	v_fma_f64 v[90:91], v[104:105], v[197:198], -v[90:91]
	v_fma_f64 v[34:35], v[34:35], v[104:105], v[106:107]
	v_mul_f64 v[104:105], v[215:216], v[147:148]
	v_mul_f64 v[106:107], v[182:183], v[155:156]
	v_fma_f64 v[147:148], v[92:93], v[201:202], -v[163:164]
	v_fma_f64 v[80:81], v[100:101], v[205:206], -v[80:81]
	;; [unrolled: 1-line block ×3, first 2 shown]
	v_fma_f64 v[30:31], v[30:31], v[92:93], v[68:69]
	v_fma_f64 v[42:43], v[42:43], v[96:97], v[70:71]
	v_fma_f64 v[68:69], v[108:109], v[195:196], -v[98:99]
	v_fma_f64 v[70:71], v[112:113], v[199:200], -v[167:168]
	;; [unrolled: 1-line block ×4, first 2 shown]
	v_fma_f64 v[38:39], v[38:39], v[100:101], v[102:103]
	v_fma_f64 v[32:33], v[32:33], v[108:109], v[110:111]
	;; [unrolled: 1-line block ×5, first 2 shown]
	v_fma_f64 v[40:41], v[137:138], v[213:214], -v[122:123]
	v_fma_f64 v[64:65], v[125:126], v[217:218], -v[171:172]
	v_fma_f64 v[96:97], v[133:134], v[221:222], -v[72:73]
	v_fma_f64 v[84:85], v[129:130], v[184:185], -v[84:85]
	v_fma_f64 v[98:99], v[14:15], v[137:138], v[139:140]
	v_fma_f64 v[100:101], v[18:19], v[133:134], v[135:136]
	;; [unrolled: 1-line block ×4, first 2 shown]
	v_add_f64 v[10:11], v[157:158], -v[169:170]
	v_add_f64 v[14:15], v[165:166], -v[173:174]
	v_add_f64 v[22:23], v[169:170], v[173:174]
	v_add_f64 v[60:61], v[50:51], -v[46:47]
	v_add_f64 v[62:63], v[169:170], -v[157:158]
	;; [unrolled: 1-line block ×3, first 2 shown]
	v_add_f64 v[72:73], v[157:158], v[165:166]
	v_add_f64 v[108:109], v[169:170], v[193:194]
	v_add_f64 v[110:111], v[58:59], -v[50:51]
	v_add_f64 v[112:113], v[54:55], -v[46:47]
	;; [unrolled: 1-line block ×3, first 2 shown]
	v_add_f64 v[118:119], v[50:51], v[46:47]
	v_add_f64 v[125:126], v[50:51], -v[58:59]
	v_add_f64 v[129:130], v[46:47], -v[54:55]
	v_add_f64 v[133:134], v[58:59], v[54:55]
	v_add_f64 v[50:51], v[26:27], v[50:51]
	v_fma_f64 v[131:132], v[141:142], v[211:212], -v[131:132]
	v_fma_f64 v[135:136], v[145:146], v[215:216], -v[175:176]
	;; [unrolled: 1-line block ×4, first 2 shown]
	v_fma_f64 v[88:89], v[12:13], v[141:142], v[143:144]
	v_fma_f64 v[141:142], v[16:17], v[149:150], v[151:152]
	;; [unrolled: 1-line block ×4, first 2 shown]
	v_add_f64 v[8:9], v[86:87], -v[114:115]
	v_add_f64 v[12:13], v[94:95], -v[127:128]
	v_add_f64 v[74:75], v[114:115], v[127:128]
	v_add_f64 v[104:105], v[48:49], -v[44:45]
	v_add_f64 v[106:107], v[114:115], -v[86:87]
	;; [unrolled: 1-line block ×3, first 2 shown]
	v_add_f64 v[151:152], v[114:115], v[191:192]
	v_add_f64 v[153:154], v[56:57], -v[48:49]
	v_add_f64 v[155:156], v[52:53], -v[44:45]
	v_add_f64 v[163:164], v[48:49], v[44:45]
	v_add_f64 v[169:170], v[48:49], -v[56:57]
	v_add_f64 v[171:172], v[44:45], -v[52:53]
	v_add_f64 v[175:176], v[56:57], v[52:53]
	v_add_f64 v[48:49], v[24:25], v[48:49]
	v_add_f64 v[177:178], v[90:91], -v[147:148]
	v_add_f64 v[181:182], v[80:81], -v[82:83]
	v_add_f64 v[185:186], v[147:148], v[82:83]
	v_add_f64 v[187:188], v[30:31], -v[42:43]
	v_add_f64 v[189:190], v[147:148], -v[90:91]
	;; [unrolled: 1-line block ×3, first 2 shown]
	v_add_f64 v[197:198], v[90:91], v[80:81]
	v_add_f64 v[201:202], v[34:35], -v[30:31]
	v_add_f64 v[205:206], v[30:31], v[42:43]
	v_add_f64 v[213:214], v[30:31], -v[34:35]
	v_add_f64 v[30:31], v[6:7], v[30:31]
	v_add_f64 v[229:230], v[70:71], v[78:79]
	;; [unrolled: 1-line block ×3, first 2 shown]
	v_add_f64 v[18:19], v[58:59], -v[54:55]
	v_add_f64 v[122:123], v[157:158], -v[165:166]
	;; [unrolled: 1-line block ×3, first 2 shown]
	v_add_f64 v[149:150], v[86:87], v[94:95]
	v_add_f64 v[114:115], v[114:115], -v[127:128]
	v_add_f64 v[167:168], v[86:87], -v[94:95]
	;; [unrolled: 1-line block ×3, first 2 shown]
	v_add_f64 v[199:200], v[147:148], v[209:210]
	v_add_f64 v[203:204], v[38:39], -v[42:43]
	v_add_f64 v[215:216], v[42:43], -v[38:39]
	v_add_f64 v[217:218], v[34:35], v[38:39]
	v_add_f64 v[231:232], v[28:29], -v[92:93]
	v_add_f64 v[233:234], v[70:71], -v[68:69]
	;; [unrolled: 1-line block ×3, first 2 shown]
	v_add_f64 v[239:240], v[70:71], v[207:208]
	v_add_f64 v[241:242], v[32:33], -v[28:29]
	v_add_f64 v[245:246], v[28:29], v[92:93]
	v_add_f64 v[249:250], v[28:29], -v[32:33]
	v_fma_f64 v[22:23], v[22:23], -0.5, v[193:194]
	v_fma_f64 v[72:73], v[72:73], -0.5, v[193:194]
	;; [unrolled: 1-line block ×3, first 2 shown]
	v_add_f64 v[193:194], v[32:33], v[36:37]
	v_add_f64 v[28:29], v[4:5], v[28:29]
	v_fma_f64 v[118:119], v[118:119], -0.5, v[26:27]
	v_fma_f64 v[26:27], v[133:134], -0.5, v[26:27]
	;; [unrolled: 1-line block ×4, first 2 shown]
	v_add_f64 v[163:164], v[40:41], -v[64:65]
	v_add_f64 v[175:176], v[96:97], -v[84:85]
	v_fma_f64 v[185:186], v[185:186], -0.5, v[209:210]
	v_fma_f64 v[197:198], v[197:198], -0.5, v[209:210]
	;; [unrolled: 1-line block ×4, first 2 shown]
	v_add_f64 v[237:238], v[64:65], v[84:85]
	v_add_f64 v[251:252], v[10:11], v[14:15]
	;; [unrolled: 1-line block ×3, first 2 shown]
	v_add_f64 v[10:11], v[64:65], -v[40:41]
	v_add_f64 v[14:15], v[157:158], v[108:109]
	v_add_f64 v[66:67], v[84:85], -v[96:97]
	v_add_f64 v[108:109], v[110:111], v[112:113]
	v_add_f64 v[110:111], v[40:41], v[96:97]
	;; [unrolled: 1-line block ×3, first 2 shown]
	s_waitcnt lgkmcnt(0)
	v_add_f64 v[125:126], v[64:65], v[225:226]
	v_add_f64 v[50:51], v[58:59], v[50:51]
	;; [unrolled: 1-line block ×3, first 2 shown]
	v_add_f64 v[159:160], v[64:65], -v[84:85]
	v_add_f64 v[64:65], v[106:107], v[145:146]
	v_add_f64 v[12:13], v[86:87], v[151:152]
	;; [unrolled: 1-line block ×12, first 2 shown]
	v_add_f64 v[211:212], v[90:91], -v[80:81]
	v_add_f64 v[219:220], v[68:69], -v[70:71]
	;; [unrolled: 1-line block ×5, first 2 shown]
	v_fma_f64 v[149:150], v[149:150], -0.5, v[191:192]
	v_add_f64 v[229:230], v[98:99], -v[100:101]
	v_add_f64 v[253:254], v[102:103], -v[120:121]
	v_add_f64 v[8:9], v[102:103], v[120:121]
	v_add_f64 v[86:87], v[40:41], -v[96:97]
	v_add_f64 v[90:91], v[90:91], v[199:200]
	v_add_f64 v[189:190], v[201:202], v[203:204]
	;; [unrolled: 1-line block ×5, first 2 shown]
	v_fma_f64 v[205:206], v[205:206], -0.5, v[6:7]
	v_fma_f64 v[233:234], v[245:246], -0.5, v[4:5]
	;; [unrolled: 1-line block ×3, first 2 shown]
	v_add_f64 v[28:29], v[32:33], v[28:29]
	v_add_f64 v[163:164], v[163:164], v[175:176]
	v_fma_f64 v[32:33], v[237:238], -0.5, v[225:226]
	v_add_f64 v[175:176], v[10:11], v[66:67]
	v_fma_f64 v[10:11], v[110:111], -0.5, v[225:226]
	v_add_f64 v[110:111], v[40:41], v[125:126]
	v_fma_f64 v[125:126], v[56:57], -0.5, v[2:3]
	v_fma_f64 v[40:41], v[18:19], s[12:13], v[22:23]
	v_fma_f64 v[56:57], v[60:61], s[4:5], v[72:73]
	;; [unrolled: 1-line block ×3, first 2 shown]
	v_add_f64 v[14:15], v[165:166], v[14:15]
	v_fma_f64 v[72:73], v[122:123], s[4:5], v[118:119]
	v_fma_f64 v[118:119], v[122:123], s[12:13], v[118:119]
	;; [unrolled: 1-line block ×4, first 2 shown]
	v_add_f64 v[50:51], v[50:51], v[54:55]
	v_fma_f64 v[177:178], v[177:178], -0.5, v[223:224]
	v_fma_f64 v[193:194], v[195:196], -0.5, v[223:224]
	;; [unrolled: 1-line block ×3, first 2 shown]
	v_fma_f64 v[34:35], v[20:21], s[12:13], v[74:75]
	v_fma_f64 v[54:55], v[20:21], s[4:5], v[74:75]
	v_add_f64 v[12:13], v[94:95], v[12:13]
	v_fma_f64 v[94:95], v[167:168], s[4:5], v[133:134]
	v_fma_f64 v[133:134], v[167:168], s[12:13], v[133:134]
	v_fma_f64 v[223:224], v[114:115], s[12:13], v[24:25]
	v_add_f64 v[147:148], v[147:148], -v[82:83]
	v_add_f64 v[247:248], v[68:69], -v[76:77]
	;; [unrolled: 1-line block ×5, first 2 shown]
	v_add_f64 v[68:69], v[68:69], v[239:240]
	v_fma_f64 v[6:7], v[217:218], -0.5, v[6:7]
	v_add_f64 v[217:218], v[241:242], v[243:244]
	v_fma_f64 v[8:9], v[8:9], -0.5, v[2:3]
	v_fma_f64 v[22:23], v[18:19], s[4:5], v[22:23]
	v_fma_f64 v[74:75], v[104:105], s[4:5], v[149:150]
	;; [unrolled: 1-line block ×4, first 2 shown]
	v_add_f64 v[48:49], v[48:49], v[52:53]
	v_fma_f64 v[52:53], v[183:184], s[12:13], v[185:186]
	v_fma_f64 v[185:186], v[183:184], s[4:5], v[185:186]
	;; [unrolled: 1-line block ×3, first 2 shown]
	v_add_f64 v[80:81], v[80:81], v[90:91]
	v_fma_f64 v[90:91], v[211:212], s[4:5], v[205:206]
	v_fma_f64 v[205:206], v[211:212], s[12:13], v[205:206]
	v_add_f64 v[30:31], v[30:31], v[38:39]
	v_fma_f64 v[38:39], v[227:228], s[12:13], v[209:210]
	v_fma_f64 v[209:210], v[227:228], s[4:5], v[209:210]
	;; [unrolled: 1-line block ×6, first 2 shown]
	v_add_f64 v[245:246], v[28:29], v[36:37]
	v_fma_f64 v[28:29], v[229:230], s[12:13], v[32:33]
	v_fma_f64 v[32:33], v[229:230], s[4:5], v[32:33]
	;; [unrolled: 1-line block ×8, first 2 shown]
	v_add_f64 v[4:5], v[50:51], v[46:47]
	v_fma_f64 v[46:47], v[104:105], s[6:7], v[34:35]
	v_fma_f64 v[50:51], v[104:105], s[14:15], v[54:55]
	;; [unrolled: 1-line block ×5, first 2 shown]
	v_add_f64 v[129:130], v[98:99], -v[102:103]
	v_add_f64 v[145:146], v[102:103], -v[98:99]
	v_add_f64 v[191:192], v[249:250], v[191:192]
	v_fma_f64 v[235:236], v[147:148], s[12:13], v[6:7]
	v_fma_f64 v[237:238], v[147:148], s[4:5], v[6:7]
	;; [unrolled: 1-line block ×4, first 2 shown]
	v_mov_b32_e32 v22, v179
	v_fma_f64 v[179:180], v[86:87], s[4:5], v[8:9]
	v_fma_f64 v[161:162], v[86:87], s[12:13], v[8:9]
	v_add_f64 v[6:7], v[173:174], v[14:15]
	v_fma_f64 v[54:55], v[20:21], s[6:7], v[74:75]
	v_fma_f64 v[74:75], v[20:21], s[14:15], v[149:150]
	v_add_f64 v[10:11], v[127:128], v[12:13]
	v_fma_f64 v[127:128], v[167:168], s[6:7], v[24:25]
	v_add_f64 v[8:9], v[48:49], v[44:45]
	v_fma_f64 v[133:134], v[187:188], s[14:15], v[185:186]
	v_fma_f64 v[149:150], v[183:184], s[6:7], v[225:226]
	v_add_f64 v[14:15], v[82:83], v[80:81]
	v_fma_f64 v[82:83], v[147:148], s[6:7], v[205:206]
	v_fma_f64 v[173:174], v[231:232], s[14:15], v[209:210]
	;; [unrolled: 1-line block ×14, first 2 shown]
	v_add_f64 v[2:3], v[2:3], v[102:103]
	v_add_f64 v[102:103], v[131:132], -v[135:136]
	v_add_f64 v[104:105], v[137:138], -v[139:140]
	v_fma_f64 v[106:107], v[169:170], s[12:13], v[177:178]
	v_fma_f64 v[108:109], v[169:170], s[4:5], v[177:178]
	v_add_f64 v[112:113], v[135:136], -v[131:132]
	v_add_f64 v[114:115], v[139:140], -v[137:138]
	v_fma_f64 v[116:117], v[181:182], s[4:5], v[193:194]
	v_add_f64 v[122:123], v[131:132], v[201:202]
	v_fma_f64 v[118:119], v[181:182], s[12:13], v[193:194]
	v_add_f64 v[221:222], v[76:77], -v[78:79]
	v_add_f64 v[203:204], v[135:136], -v[139:140]
	v_fma_f64 v[56:57], v[18:19], s[6:7], v[56:57]
	v_fma_f64 v[66:67], v[18:19], s[14:15], v[66:67]
	;; [unrolled: 1-line block ×6, first 2 shown]
	v_add_f64 v[157:158], v[100:101], -v[120:121]
	v_add_f64 v[12:13], v[30:31], v[42:43]
	v_fma_f64 v[167:168], v[231:232], s[6:7], v[38:39]
	v_fma_f64 v[26:27], v[251:252], s[10:11], v[60:61]
	;; [unrolled: 1-line block ×4, first 2 shown]
	v_add_f64 v[104:105], v[102:103], v[104:105]
	v_fma_f64 v[102:103], v[181:182], s[6:7], v[106:107]
	v_fma_f64 v[106:107], v[181:182], s[14:15], v[108:109]
	;; [unrolled: 1-line block ×3, first 2 shown]
	v_add_f64 v[108:109], v[112:113], v[114:115]
	v_fma_f64 v[112:113], v[169:170], s[6:7], v[116:117]
	v_add_f64 v[116:117], v[137:138], v[122:123]
	v_fma_f64 v[114:115], v[169:170], s[14:15], v[118:119]
	v_add_f64 v[213:214], v[219:220], v[221:222]
	v_add_f64 v[221:222], v[88:89], v[141:142]
	v_add_f64 v[219:220], v[131:132], -v[137:138]
	v_fma_f64 v[30:31], v[62:63], s[10:11], v[56:57]
	v_fma_f64 v[34:35], v[62:63], s[10:11], v[66:67]
	;; [unrolled: 1-line block ×10, first 2 shown]
	v_add_f64 v[125:126], v[88:89], -v[16:17]
	v_add_f64 v[127:128], v[141:142], -v[143:144]
	;; [unrolled: 1-line block ×3, first 2 shown]
	v_fma_f64 v[54:55], v[155:156], s[10:11], v[52:53]
	v_add_f64 v[96:97], v[96:97], v[110:111]
	v_add_f64 v[155:156], v[98:99], v[2:3]
	v_add_f64 v[153:154], v[120:121], -v[100:101]
	v_add_f64 v[118:119], v[139:140], v[116:117]
	s_clause 0x1
	buffer_load_dword v116, off, s[24:27], 0
	buffer_load_dword v117, off, s[24:27], 0 offset:4
	v_add_f64 v[110:111], v[129:130], v[157:158]
	v_fma_f64 v[221:222], v[221:222], -0.5, v[0:1]
	v_add_f64 v[0:1], v[0:1], v[16:17]
	v_fma_f64 v[131:132], v[219:220], s[4:5], v[195:196]
	v_fma_f64 v[133:134], v[219:220], s[12:13], v[195:196]
	v_add_f64 v[16:17], v[16:17], -v[88:89]
	v_fma_f64 v[129:130], v[159:160], s[14:15], v[179:180]
	v_fma_f64 v[151:152], v[159:160], s[6:7], v[161:162]
	;; [unrolled: 1-line block ×3, first 2 shown]
	v_add_f64 v[68:69], v[76:77], v[68:69]
	v_fma_f64 v[76:77], v[247:248], s[4:5], v[233:234]
	v_fma_f64 v[233:234], v[247:248], s[12:13], v[233:234]
	;; [unrolled: 1-line block ×3, first 2 shown]
	v_mov_b32_e32 v23, v124
	v_add_f64 v[122:123], v[125:126], v[127:128]
	v_fma_f64 v[114:115], v[108:109], s[10:11], v[114:115]
	v_fma_f64 v[102:103], v[104:105], s[10:11], v[102:103]
	v_add_f64 v[98:99], v[84:85], v[96:97]
	v_add_f64 v[96:97], v[155:156], v[100:101]
	;; [unrolled: 1-line block ×3, first 2 shown]
	v_fma_f64 v[153:154], v[86:87], s[6:7], v[94:95]
	v_fma_f64 v[106:107], v[104:105], s[10:11], v[106:107]
	;; [unrolled: 1-line block ×5, first 2 shown]
	v_add_f64 v[0:1], v[88:89], v[0:1]
	v_fma_f64 v[125:126], v[203:204], s[14:15], v[131:132]
	v_fma_f64 v[127:128], v[203:204], s[6:7], v[133:134]
	v_add_f64 v[131:132], v[16:17], v[135:136]
	v_fma_f64 v[88:89], v[86:87], s[14:15], v[90:91]
	v_fma_f64 v[84:85], v[110:111], s[10:11], v[151:152]
	;; [unrolled: 1-line block ×4, first 2 shown]
	v_add_f64 v[18:19], v[78:79], v[68:69]
	v_fma_f64 v[68:69], v[70:71], s[14:15], v[76:77]
	v_fma_f64 v[76:77], v[70:71], s[6:7], v[233:234]
	;; [unrolled: 1-line block ×3, first 2 shown]
	v_add_f64 v[16:17], v[245:246], v[92:93]
	v_fma_f64 v[94:95], v[175:176], s[10:11], v[211:212]
	v_fma_f64 v[86:87], v[163:164], s[10:11], v[207:208]
	v_add_f64 v[96:97], v[96:97], v[120:121]
	v_fma_f64 v[2:3], v[163:164], s[10:11], v[205:206]
	v_fma_f64 v[92:93], v[145:146], s[10:11], v[153:154]
	;; [unrolled: 1-line block ×6, first 2 shown]
	v_add_f64 v[137:138], v[0:1], v[141:142]
	v_fma_f64 v[0:1], v[110:111], s[10:11], v[129:130]
	v_fma_f64 v[110:111], v[108:109], s[10:11], v[112:113]
	;; [unrolled: 1-line block ×4, first 2 shown]
	v_lshlrev_b64 v[122:123], 4, v[22:23]
	v_fma_f64 v[88:89], v[145:146], s[10:11], v[88:89]
	v_fma_f64 v[56:57], v[189:190], s[10:11], v[82:83]
	;; [unrolled: 1-line block ×13, first 2 shown]
	s_waitcnt vmcnt(1)
	v_add_co_u32 v131, vcc_lo, s2, v116
	s_waitcnt vmcnt(0)
	v_add_co_ci_u32_e32 v132, vcc_lo, s3, v117, vcc_lo
	v_add_f64 v[116:117], v[137:138], v[143:144]
	v_add_co_u32 v125, vcc_lo, v131, v122
	v_add_co_ci_u32_e32 v126, vcc_lo, v132, v123, vcc_lo
	v_add_co_u32 v120, vcc_lo, 0x2800, v125
	v_add_co_ci_u32_e32 v121, vcc_lo, 0, v126, vcc_lo
	;; [unrolled: 2-line block ×5, first 2 shown]
	global_store_dwordx4 v[125:126], v[116:119], off
	global_store_dwordx4 v[120:121], v[112:115], off offset:1760
	global_store_dwordx4 v[122:123], v[104:107], off offset:1472
	;; [unrolled: 1-line block ×5, first 2 shown]
	v_add_co_u32 v96, vcc_lo, 0x3000, v125
	v_add_co_ci_u32_e32 v97, vcc_lo, 0, v126, vcc_lo
	v_add_co_u32 v98, vcc_lo, 0x6000, v125
	v_add_co_ci_u32_e32 v99, vcc_lo, 0, v126, vcc_lo
	;; [unrolled: 2-line block ×5, first 2 shown]
	global_store_dwordx4 v[96:97], v[92:95], off offset:1712
	global_store_dwordx4 v[98:99], v[84:87], off offset:1424
	;; [unrolled: 1-line block ×5, first 2 shown]
	v_add_co_u32 v0, vcc_lo, 0x3800, v125
	v_add_co_ci_u32_e32 v1, vcc_lo, 0, v126, vcc_lo
	v_add_co_u32 v2, vcc_lo, 0x6800, v125
	v_add_co_ci_u32_e32 v3, vcc_lo, 0, v126, vcc_lo
	v_add_co_u32 v16, vcc_lo, 0x9800, v125
	v_add_co_ci_u32_e32 v17, vcc_lo, 0, v126, vcc_lo
	v_add_co_u32 v18, vcc_lo, 0xc800, v125
	v_add_co_ci_u32_e32 v19, vcc_lo, 0, v126, vcc_lo
	v_add_co_u32 v84, vcc_lo, 0x1000, v125
	v_add_co_ci_u32_e32 v85, vcc_lo, 0, v126, vcc_lo
	global_store_dwordx4 v[0:1], v[80:83], off offset:1664
	global_store_dwordx4 v[2:3], v[72:75], off offset:1376
	;; [unrolled: 1-line block ×5, first 2 shown]
	buffer_load_dword v15, off, s[24:27], 0 offset:8 ; 4-byte Folded Reload
	v_add_co_u32 v0, vcc_lo, 0x4000, v125
	v_add_co_ci_u32_e32 v1, vcc_lo, 0, v126, vcc_lo
	v_add_co_u32 v2, vcc_lo, 0x7000, v125
	v_add_co_ci_u32_e32 v3, vcc_lo, 0, v126, vcc_lo
	s_waitcnt vmcnt(0)
	v_mul_hi_u32 v12, 0x57619f1, v15
	v_lshrrev_b32_e32 v14, 4, v12
	v_add_co_u32 v12, vcc_lo, 0xa000, v125
	v_add_co_ci_u32_e32 v13, vcc_lo, 0, v126, vcc_lo
	v_mad_u32_u24 v123, 0xbb8, v14, v15
	v_add_co_u32 v14, vcc_lo, 0xd000, v125
	v_add_co_ci_u32_e32 v15, vcc_lo, 0, v126, vcc_lo
	v_lshlrev_b64 v[16:17], 4, v[123:124]
	global_store_dwordx4 v[0:1], v[64:67], off offset:1616
	global_store_dwordx4 v[2:3], v[56:59], off offset:1328
	;; [unrolled: 1-line block ×4, first 2 shown]
	v_mul_hi_u32 v14, 0x57619f1, v255
	v_add_co_u32 v0, vcc_lo, v131, v16
	v_add_co_ci_u32_e32 v1, vcc_lo, v132, v17, vcc_lo
	v_lshrrev_b32_e32 v16, 4, v14
	v_add_co_u32 v2, vcc_lo, 0x2800, v0
	v_add_co_ci_u32_e32 v3, vcc_lo, 0, v1, vcc_lo
	v_add_co_u32 v12, vcc_lo, 0x5800, v0
	v_add_co_ci_u32_e32 v13, vcc_lo, 0, v1, vcc_lo
	v_mad_u32_u24 v123, 0xbb8, v16, v255
	v_add_co_u32 v14, vcc_lo, 0x8800, v0
	v_add_co_ci_u32_e32 v15, vcc_lo, 0, v1, vcc_lo
	global_store_dwordx4 v[0:1], v[8:11], off
	global_store_dwordx4 v[2:3], v[48:51], off offset:1760
	global_store_dwordx4 v[12:13], v[40:43], off offset:1472
	global_store_dwordx4 v[14:15], v[36:39], off offset:1184
	v_lshlrev_b64 v[2:3], 4, v[123:124]
	v_add_co_u32 v0, vcc_lo, 0xb800, v0
	v_add_co_ci_u32_e32 v1, vcc_lo, 0, v1, vcc_lo
	v_add_co_u32 v2, vcc_lo, v131, v2
	v_add_co_ci_u32_e32 v3, vcc_lo, v132, v3, vcc_lo
	global_store_dwordx4 v[0:1], v[44:47], off offset:896
	v_add_co_u32 v0, vcc_lo, 0x2800, v2
	v_add_co_ci_u32_e32 v1, vcc_lo, 0, v3, vcc_lo
	v_add_co_u32 v8, vcc_lo, 0x5800, v2
	v_add_co_ci_u32_e32 v9, vcc_lo, 0, v3, vcc_lo
	;; [unrolled: 2-line block ×4, first 2 shown]
	global_store_dwordx4 v[2:3], v[4:7], off
	global_store_dwordx4 v[0:1], v[32:35], off offset:1760
	global_store_dwordx4 v[8:9], v[24:27], off offset:1472
	;; [unrolled: 1-line block ×4, first 2 shown]
.LBB0_13:
	s_endpgm
	.section	.rodata,"a",@progbits
	.p2align	6, 0x0
	.amdhsa_kernel fft_rtc_back_len3750_factors_3_5_5_10_5_wgs_125_tpt_125_halfLds_dp_ip_CI_unitstride_sbrr_dirReg
		.amdhsa_group_segment_fixed_size 0
		.amdhsa_private_segment_fixed_size 16
		.amdhsa_kernarg_size 88
		.amdhsa_user_sgpr_count 6
		.amdhsa_user_sgpr_private_segment_buffer 1
		.amdhsa_user_sgpr_dispatch_ptr 0
		.amdhsa_user_sgpr_queue_ptr 0
		.amdhsa_user_sgpr_kernarg_segment_ptr 1
		.amdhsa_user_sgpr_dispatch_id 0
		.amdhsa_user_sgpr_flat_scratch_init 0
		.amdhsa_user_sgpr_private_segment_size 0
		.amdhsa_wavefront_size32 1
		.amdhsa_uses_dynamic_stack 0
		.amdhsa_system_sgpr_private_segment_wavefront_offset 1
		.amdhsa_system_sgpr_workgroup_id_x 1
		.amdhsa_system_sgpr_workgroup_id_y 0
		.amdhsa_system_sgpr_workgroup_id_z 0
		.amdhsa_system_sgpr_workgroup_info 0
		.amdhsa_system_vgpr_workitem_id 0
		.amdhsa_next_free_vgpr 256
		.amdhsa_next_free_sgpr 28
		.amdhsa_reserve_vcc 1
		.amdhsa_reserve_flat_scratch 0
		.amdhsa_float_round_mode_32 0
		.amdhsa_float_round_mode_16_64 0
		.amdhsa_float_denorm_mode_32 3
		.amdhsa_float_denorm_mode_16_64 3
		.amdhsa_dx10_clamp 1
		.amdhsa_ieee_mode 1
		.amdhsa_fp16_overflow 0
		.amdhsa_workgroup_processor_mode 1
		.amdhsa_memory_ordered 1
		.amdhsa_forward_progress 0
		.amdhsa_shared_vgpr_count 0
		.amdhsa_exception_fp_ieee_invalid_op 0
		.amdhsa_exception_fp_denorm_src 0
		.amdhsa_exception_fp_ieee_div_zero 0
		.amdhsa_exception_fp_ieee_overflow 0
		.amdhsa_exception_fp_ieee_underflow 0
		.amdhsa_exception_fp_ieee_inexact 0
		.amdhsa_exception_int_div_zero 0
	.end_amdhsa_kernel
	.text
.Lfunc_end0:
	.size	fft_rtc_back_len3750_factors_3_5_5_10_5_wgs_125_tpt_125_halfLds_dp_ip_CI_unitstride_sbrr_dirReg, .Lfunc_end0-fft_rtc_back_len3750_factors_3_5_5_10_5_wgs_125_tpt_125_halfLds_dp_ip_CI_unitstride_sbrr_dirReg
                                        ; -- End function
	.section	.AMDGPU.csdata,"",@progbits
; Kernel info:
; codeLenInByte = 24384
; NumSgprs: 30
; NumVgprs: 256
; ScratchSize: 16
; MemoryBound: 1
; FloatMode: 240
; IeeeMode: 1
; LDSByteSize: 0 bytes/workgroup (compile time only)
; SGPRBlocks: 3
; VGPRBlocks: 31
; NumSGPRsForWavesPerEU: 30
; NumVGPRsForWavesPerEU: 256
; Occupancy: 4
; WaveLimiterHint : 1
; COMPUTE_PGM_RSRC2:SCRATCH_EN: 1
; COMPUTE_PGM_RSRC2:USER_SGPR: 6
; COMPUTE_PGM_RSRC2:TRAP_HANDLER: 0
; COMPUTE_PGM_RSRC2:TGID_X_EN: 1
; COMPUTE_PGM_RSRC2:TGID_Y_EN: 0
; COMPUTE_PGM_RSRC2:TGID_Z_EN: 0
; COMPUTE_PGM_RSRC2:TIDIG_COMP_CNT: 0
	.text
	.p2alignl 6, 3214868480
	.fill 48, 4, 3214868480
	.type	__hip_cuid_578557f41753c519,@object ; @__hip_cuid_578557f41753c519
	.section	.bss,"aw",@nobits
	.globl	__hip_cuid_578557f41753c519
__hip_cuid_578557f41753c519:
	.byte	0                               ; 0x0
	.size	__hip_cuid_578557f41753c519, 1

	.ident	"AMD clang version 19.0.0git (https://github.com/RadeonOpenCompute/llvm-project roc-6.4.0 25133 c7fe45cf4b819c5991fe208aaa96edf142730f1d)"
	.section	".note.GNU-stack","",@progbits
	.addrsig
	.addrsig_sym __hip_cuid_578557f41753c519
	.amdgpu_metadata
---
amdhsa.kernels:
  - .args:
      - .actual_access:  read_only
        .address_space:  global
        .offset:         0
        .size:           8
        .value_kind:     global_buffer
      - .offset:         8
        .size:           8
        .value_kind:     by_value
      - .actual_access:  read_only
        .address_space:  global
        .offset:         16
        .size:           8
        .value_kind:     global_buffer
      - .actual_access:  read_only
        .address_space:  global
        .offset:         24
        .size:           8
        .value_kind:     global_buffer
      - .offset:         32
        .size:           8
        .value_kind:     by_value
      - .actual_access:  read_only
        .address_space:  global
        .offset:         40
        .size:           8
        .value_kind:     global_buffer
      - .actual_access:  read_only
        .address_space:  global
        .offset:         48
        .size:           8
        .value_kind:     global_buffer
      - .offset:         56
        .size:           4
        .value_kind:     by_value
      - .actual_access:  read_only
        .address_space:  global
        .offset:         64
        .size:           8
        .value_kind:     global_buffer
      - .actual_access:  read_only
        .address_space:  global
        .offset:         72
        .size:           8
        .value_kind:     global_buffer
      - .address_space:  global
        .offset:         80
        .size:           8
        .value_kind:     global_buffer
    .group_segment_fixed_size: 0
    .kernarg_segment_align: 8
    .kernarg_segment_size: 88
    .language:       OpenCL C
    .language_version:
      - 2
      - 0
    .max_flat_workgroup_size: 125
    .name:           fft_rtc_back_len3750_factors_3_5_5_10_5_wgs_125_tpt_125_halfLds_dp_ip_CI_unitstride_sbrr_dirReg
    .private_segment_fixed_size: 16
    .sgpr_count:     30
    .sgpr_spill_count: 0
    .symbol:         fft_rtc_back_len3750_factors_3_5_5_10_5_wgs_125_tpt_125_halfLds_dp_ip_CI_unitstride_sbrr_dirReg.kd
    .uniform_work_group_size: 1
    .uses_dynamic_stack: false
    .vgpr_count:     256
    .vgpr_spill_count: 3
    .wavefront_size: 32
    .workgroup_processor_mode: 1
amdhsa.target:   amdgcn-amd-amdhsa--gfx1030
amdhsa.version:
  - 1
  - 2
...

	.end_amdgpu_metadata
